;; amdgpu-corpus repo=ROCm/rocFFT kind=compiled arch=gfx1201 opt=O3
	.text
	.amdgcn_target "amdgcn-amd-amdhsa--gfx1201"
	.amdhsa_code_object_version 6
	.protected	bluestein_single_back_len1530_dim1_sp_op_CI_CI ; -- Begin function bluestein_single_back_len1530_dim1_sp_op_CI_CI
	.globl	bluestein_single_back_len1530_dim1_sp_op_CI_CI
	.p2align	8
	.type	bluestein_single_back_len1530_dim1_sp_op_CI_CI,@function
bluestein_single_back_len1530_dim1_sp_op_CI_CI: ; @bluestein_single_back_len1530_dim1_sp_op_CI_CI
; %bb.0:
	s_load_b128 s[8:11], s[0:1], 0x28
	v_mul_u32_u24_e32 v1, 0x283, v0
	s_mov_b32 s2, exec_lo
	v_mov_b32_e32 v109, 0
	s_delay_alu instid0(VALU_DEP_2) | instskip(NEXT) | instid1(VALU_DEP_1)
	v_lshrrev_b32_e32 v1, 16, v1
	v_add_nc_u32_e32 v108, ttmp9, v1
	s_wait_kmcnt 0x0
	s_delay_alu instid0(VALU_DEP_1)
	v_cmpx_gt_u64_e64 s[8:9], v[108:109]
	s_cbranch_execz .LBB0_23
; %bb.1:
	s_clause 0x1
	s_load_b64 s[8:9], s[0:1], 0x0
	s_load_b64 s[12:13], s[0:1], 0x38
	v_mul_lo_u16 v1, 0x66, v1
	s_delay_alu instid0(VALU_DEP_1) | instskip(NEXT) | instid1(VALU_DEP_1)
	v_sub_nc_u16 v0, v0, v1
	v_and_b32_e32 v118, 0xffff, v0
	v_cmp_gt_u16_e32 vcc_lo, 0x5a, v0
	s_delay_alu instid0(VALU_DEP_2)
	v_lshlrev_b32_e32 v117, 3, v118
	s_and_saveexec_b32 s3, vcc_lo
	s_cbranch_execz .LBB0_3
; %bb.2:
	s_load_b64 s[4:5], s[0:1], 0x18
	s_delay_alu instid0(VALU_DEP_1)
	v_add_nc_u32_e32 v70, 0x400, v117
	v_add_nc_u32_e32 v72, 0x1000, v117
	s_wait_kmcnt 0x0
	s_load_b128 s[4:7], s[4:5], 0x0
	s_wait_kmcnt 0x0
	v_mad_co_u64_u32 v[0:1], null, s6, v108, 0
	v_mad_co_u64_u32 v[2:3], null, s4, v118, 0
	s_delay_alu instid0(VALU_DEP_1) | instskip(NEXT) | instid1(VALU_DEP_1)
	v_mad_co_u64_u32 v[4:5], null, s7, v108, v[1:2]
	v_mad_co_u64_u32 v[5:6], null, s5, v118, v[3:4]
	v_mov_b32_e32 v1, v4
	s_mul_u64 s[4:5], s[4:5], 0x2d0
	s_delay_alu instid0(VALU_DEP_1) | instskip(NEXT) | instid1(VALU_DEP_3)
	v_lshlrev_b64_e32 v[0:1], 3, v[0:1]
	v_mov_b32_e32 v3, v5
	s_delay_alu instid0(VALU_DEP_2) | instskip(NEXT) | instid1(VALU_DEP_2)
	v_add_co_u32 v10, s2, s10, v0
	v_lshlrev_b64_e32 v[2:3], 3, v[2:3]
	s_delay_alu instid0(VALU_DEP_4)
	v_add_co_ci_u32_e64 v11, s2, s11, v1, s2
	s_clause 0xb
	global_load_b64 v[0:1], v117, s[8:9]
	global_load_b64 v[4:5], v117, s[8:9] offset:720
	global_load_b64 v[6:7], v117, s[8:9] offset:1440
	;; [unrolled: 1-line block ×11, first 2 shown]
	v_add_co_u32 v2, s2, v10, v2
	s_wait_alu 0xf1ff
	v_add_co_ci_u32_e64 v3, s2, v11, v3, s2
	s_clause 0x2
	global_load_b64 v[32:33], v117, s[8:9] offset:8640
	global_load_b64 v[34:35], v117, s[8:9] offset:9360
	;; [unrolled: 1-line block ×3, first 2 shown]
	s_wait_alu 0xfffe
	v_add_co_u32 v10, s2, v2, s4
	s_wait_alu 0xf1ff
	v_add_co_ci_u32_e64 v11, s2, s5, v3, s2
	s_delay_alu instid0(VALU_DEP_2) | instskip(SKIP_1) | instid1(VALU_DEP_2)
	v_add_co_u32 v20, s2, v10, s4
	s_wait_alu 0xf1ff
	v_add_co_ci_u32_e64 v21, s2, s5, v11, s2
	s_delay_alu instid0(VALU_DEP_2) | instskip(SKIP_1) | instid1(VALU_DEP_2)
	;; [unrolled: 4-line block ×3, first 2 shown]
	v_add_co_u32 v38, s2, v30, s4
	s_wait_alu 0xf1ff
	v_add_co_ci_u32_e64 v39, s2, s5, v31, s2
	s_clause 0x3
	global_load_b64 v[2:3], v[2:3], off
	global_load_b64 v[10:11], v[10:11], off
	;; [unrolled: 1-line block ×4, first 2 shown]
	v_add_co_u32 v40, s2, v38, s4
	s_wait_alu 0xf1ff
	v_add_co_ci_u32_e64 v41, s2, s5, v39, s2
	global_load_b64 v[38:39], v[38:39], off
	v_add_co_u32 v42, s2, v40, s4
	s_wait_alu 0xf1ff
	v_add_co_ci_u32_e64 v43, s2, s5, v41, s2
	global_load_b64 v[40:41], v[40:41], off
	;; [unrolled: 4-line block ×11, first 2 shown]
	v_add_co_u32 v62, s2, v60, s4
	s_wait_alu 0xf1ff
	v_add_co_ci_u32_e64 v63, s2, s5, v61, s2
	global_load_b64 v[64:65], v117, s[8:9] offset:10800
	global_load_b64 v[60:61], v[60:61], off
	global_load_b64 v[66:67], v117, s[8:9] offset:11520
	global_load_b64 v[62:63], v[62:63], off
	v_add_nc_u32_e32 v76, 0x2400, v117
	v_add_nc_u32_e32 v73, 0x1400, v117
	s_wait_loadcnt 0x12
	v_mul_f32_e32 v68, v3, v1
	v_mul_f32_e32 v69, v2, v1
	s_wait_loadcnt 0x11
	v_mul_f32_e32 v1, v11, v5
	v_add_nc_u32_e32 v74, 0x1800, v117
	s_delay_alu instid0(VALU_DEP_3) | instskip(NEXT) | instid1(VALU_DEP_3)
	v_fma_f32 v69, v3, v0, -v69
	v_fmac_f32_e32 v1, v10, v4
	s_wait_loadcnt 0x10
	v_mul_f32_e32 v3, v21, v7
	v_dual_fmac_f32 v68, v2, v0 :: v_dual_add_nc_u32 v71, 0x800, v117
	v_dual_mul_f32 v0, v10, v5 :: v_dual_mul_f32 v7, v20, v7
	s_delay_alu instid0(VALU_DEP_3)
	v_fmac_f32_e32 v3, v20, v6
	s_wait_loadcnt 0xf
	v_mul_f32_e32 v5, v31, v9
	v_mul_f32_e32 v9, v30, v9
	v_fma_f32 v2, v11, v4, -v0
	v_fma_f32 v4, v21, v6, -v7
	s_wait_loadcnt 0xe
	v_dual_mul_f32 v0, v39, v13 :: v_dual_fmac_f32 v5, v30, v8
	v_fma_f32 v6, v31, v8, -v9
	v_mul_f32_e32 v7, v38, v13
	ds_store_2addr_b64 v117, v[68:69], v[1:2] offset1:90
	s_wait_loadcnt 0xd
	v_dual_mul_f32 v2, v41, v15 :: v_dual_add_nc_u32 v75, 0x2000, v117
	v_fmac_f32_e32 v0, v38, v12
	ds_store_2addr_b64 v70, v[3:4], v[5:6] offset0:52 offset1:142
	s_wait_loadcnt 0xc
	v_dual_mul_f32 v3, v40, v15 :: v_dual_mul_f32 v4, v43, v17
	v_fmac_f32_e32 v2, v40, v14
	s_wait_loadcnt 0xa
	v_mul_f32_e32 v8, v47, v23
	v_fma_f32 v1, v39, v12, -v7
	v_fma_f32 v3, v41, v14, -v3
	v_mul_f32_e32 v6, v45, v19
	v_dual_mul_f32 v7, v44, v19 :: v_dual_fmac_f32 v4, v42, v16
	v_mul_f32_e32 v9, v46, v23
	ds_store_2addr_b64 v71, v[0:1], v[2:3] offset0:104 offset1:194
	s_wait_loadcnt 0x9
	v_mul_f32_e32 v0, v49, v25
	v_dual_mul_f32 v5, v42, v17 :: v_dual_fmac_f32 v6, v44, v18
	v_fma_f32 v7, v45, v18, -v7
	s_wait_loadcnt 0x8
	v_mul_f32_e32 v2, v51, v27
	v_fmac_f32_e32 v0, v48, v24
	v_fma_f32 v5, v43, v16, -v5
	v_dual_fmac_f32 v8, v46, v22 :: v_dual_mul_f32 v1, v48, v25
	ds_store_2addr_b64 v72, v[4:5], v[6:7] offset0:28 offset1:118
	s_wait_loadcnt 0x6
	v_mul_f32_e32 v6, v55, v33
	v_mul_f32_e32 v7, v54, v33
	;; [unrolled: 1-line block ×3, first 2 shown]
	s_wait_loadcnt 0x5
	v_mul_f32_e32 v10, v57, v35
	v_mul_f32_e32 v3, v50, v27
	v_dual_mul_f32 v5, v52, v29 :: v_dual_fmac_f32 v2, v50, v26
	s_wait_loadcnt 0x4
	v_dual_mul_f32 v11, v56, v35 :: v_dual_mul_f32 v12, v59, v37
	v_dual_fmac_f32 v10, v56, v34 :: v_dual_mul_f32 v13, v58, v37
	s_wait_loadcnt 0x2
	v_mul_f32_e32 v14, v61, v65
	v_mul_f32_e32 v15, v60, v65
	s_wait_loadcnt 0x0
	v_mul_f32_e32 v17, v62, v67
	v_fmac_f32_e32 v6, v54, v32
	v_mul_f32_e32 v16, v63, v67
	v_fma_f32 v9, v47, v22, -v9
	v_fma_f32 v1, v49, v24, -v1
	v_fmac_f32_e32 v4, v52, v28
	v_fma_f32 v3, v51, v26, -v3
	v_fma_f32 v5, v53, v28, -v5
	;; [unrolled: 1-line block ×4, first 2 shown]
	v_fmac_f32_e32 v12, v58, v36
	v_fma_f32 v13, v59, v36, -v13
	v_fmac_f32_e32 v14, v60, v64
	v_fma_f32 v15, v61, v64, -v15
	;; [unrolled: 2-line block ×3, first 2 shown]
	ds_store_2addr_b64 v73, v[8:9], v[0:1] offset0:80 offset1:170
	ds_store_2addr_b64 v74, v[2:3], v[4:5] offset0:132 offset1:222
	;; [unrolled: 1-line block ×4, first 2 shown]
	ds_store_b64 v117, v[16:17] offset:11520
.LBB0_3:
	s_or_b32 exec_lo, exec_lo, s3
	s_clause 0x1
	s_load_b64 s[4:5], s[0:1], 0x20
	s_load_b64 s[2:3], s[0:1], 0x8
	v_mov_b32_e32 v0, 0
	v_mov_b32_e32 v1, 0
                                        ; kill: def $vgpr2 killed $sgpr0 killed $exec
	global_wb scope:SCOPE_SE
	s_wait_dscnt 0x0
	s_wait_kmcnt 0x0
	s_barrier_signal -1
	s_barrier_wait -1
	global_inv scope:SCOPE_SE
                                        ; implicit-def: $vgpr18
                                        ; implicit-def: $vgpr12
                                        ; implicit-def: $vgpr8
                                        ; implicit-def: $vgpr4
                                        ; implicit-def: $vgpr32
                                        ; implicit-def: $vgpr30
                                        ; implicit-def: $vgpr22
                                        ; implicit-def: $vgpr26
	s_and_saveexec_b32 s0, vcc_lo
	s_cbranch_execz .LBB0_5
; %bb.4:
	v_add_nc_u32_e32 v4, 0x400, v117
	v_add_nc_u32_e32 v5, 0x800, v117
	;; [unrolled: 1-line block ×3, first 2 shown]
	ds_load_2addr_b64 v[0:3], v117 offset1:90
	v_add_nc_u32_e32 v7, 0x2000, v117
	ds_load_2addr_b64 v[24:27], v4 offset0:52 offset1:142
	ds_load_2addr_b64 v[20:23], v5 offset0:104 offset1:194
	v_add_nc_u32_e32 v4, 0x1400, v117
	v_add_nc_u32_e32 v5, 0x1800, v117
	;; [unrolled: 1-line block ×3, first 2 shown]
	ds_load_2addr_b64 v[28:31], v6 offset0:28 offset1:118
	ds_load_2addr_b64 v[16:19], v4 offset0:80 offset1:170
	;; [unrolled: 1-line block ×5, first 2 shown]
	ds_load_b64 v[32:33], v117 offset:11520
.LBB0_5:
	s_wait_alu 0xfffe
	s_or_b32 exec_lo, exec_lo, s0
	s_wait_dscnt 0x0
	v_dual_sub_f32 v77, v3, v33 :: v_dual_add_f32 v36, v32, v2
	v_dual_sub_f32 v91, v2, v32 :: v_dual_add_f32 v38, v33, v3
	s_delay_alu instid0(VALU_DEP_2) | instskip(SKIP_1) | instid1(VALU_DEP_3)
	v_dual_sub_f32 v84, v24, v6 :: v_dual_mul_f32 v65, 0xbf2c7751, v77
	v_dual_mul_f32 v54, 0xbeb8f4ab, v77 :: v_dual_add_f32 v37, v6, v24
	v_mul_f32_e32 v56, 0xbeb8f4ab, v91
	v_dual_sub_f32 v82, v25, v7 :: v_dual_add_f32 v39, v7, v25
	s_delay_alu instid0(VALU_DEP_3) | instskip(SKIP_1) | instid1(VALU_DEP_4)
	v_dual_fmamk_f32 v34, v36, 0x3f6eb680, v54 :: v_dual_sub_f32 v97, v27, v5
	v_mul_f32_e32 v71, 0xbf2c7751, v91
	v_fma_f32 v35, 0x3f6eb680, v38, -v56
	s_delay_alu instid0(VALU_DEP_4) | instskip(NEXT) | instid1(VALU_DEP_4)
	v_dual_mul_f32 v55, 0xbf2c7751, v82 :: v_dual_mul_f32 v58, 0xbf2c7751, v84
	v_add_f32_e32 v34, v34, v0
	s_delay_alu instid0(VALU_DEP_4) | instskip(NEXT) | instid1(VALU_DEP_4)
	v_fma_f32 v41, 0x3f3d2fb0, v38, -v71
	v_dual_add_f32 v35, v35, v1 :: v_dual_mul_f32 v72, 0xbf7ee86f, v82
	v_dual_sub_f32 v111, v26, v4 :: v_dual_sub_f32 v116, v21, v11
	s_delay_alu instid0(VALU_DEP_3) | instskip(SKIP_2) | instid1(VALU_DEP_4)
	v_dual_sub_f32 v123, v20, v10 :: v_dual_add_f32 v44, v41, v1
	v_fma_f32 v41, 0x3f3d2fb0, v39, -v58
	v_fmamk_f32 v40, v36, 0x3f3d2fb0, v65
	v_mul_f32_e32 v61, 0xbf65296c, v111
	s_delay_alu instid0(VALU_DEP_4) | instskip(NEXT) | instid1(VALU_DEP_4)
	v_dual_mul_f32 v59, 0xbf7ee86f, v116 :: v_dual_mul_f32 v62, 0xbf7ee86f, v123
	v_add_f32_e32 v35, v41, v35
	s_delay_alu instid0(VALU_DEP_4) | instskip(SKIP_1) | instid1(VALU_DEP_2)
	v_dual_fmamk_f32 v42, v37, 0x3f3d2fb0, v55 :: v_dual_add_f32 v43, v40, v0
	v_dual_add_f32 v40, v4, v26 :: v_dual_mul_f32 v57, 0xbf65296c, v97
	v_dual_add_f32 v41, v5, v27 :: v_dual_add_f32 v34, v42, v34
	v_fmamk_f32 v42, v37, 0x3dbcf732, v72
	v_mul_f32_e32 v74, 0xbf7ee86f, v84
	s_delay_alu instid0(VALU_DEP_4)
	v_fmamk_f32 v46, v40, 0x3ee437d1, v57
	v_mul_f32_e32 v73, 0xbf4c4adb, v97
	v_mul_f32_e32 v75, 0xbf4c4adb, v111
	v_add_f32_e32 v47, v42, v43
	v_fma_f32 v45, 0x3dbcf732, v39, -v74
	v_fma_f32 v43, 0x3ee437d1, v41, -v61
	v_add_f32_e32 v42, v10, v20
	v_mul_f32_e32 v78, 0xbe3c28d5, v116
	global_wb scope:SCOPE_SE
	v_dual_add_f32 v44, v45, v44 :: v_dual_add_f32 v35, v43, v35
	v_dual_add_f32 v43, v11, v21 :: v_dual_add_f32 v34, v46, v34
	v_fmamk_f32 v45, v40, 0xbf1a4643, v73
	v_fma_f32 v46, 0xbf1a4643, v41, -v75
	v_fmamk_f32 v48, v42, 0x3dbcf732, v59
	v_mul_f32_e32 v85, 0xbe3c28d5, v123
	v_sub_f32_e32 v127, v22, v8
	s_delay_alu instid0(VALU_DEP_4) | instskip(NEXT) | instid1(VALU_DEP_4)
	v_dual_add_f32 v45, v45, v47 :: v_dual_add_f32 v44, v46, v44
	v_dual_add_f32 v34, v48, v34 :: v_dual_add_f32 v47, v9, v23
	v_dual_sub_f32 v126, v23, v9 :: v_dual_fmamk_f32 v49, v42, 0xbf7ba420, v78
	v_fma_f32 v48, 0x3dbcf732, v43, -v62
	v_add_f32_e32 v46, v8, v22
	v_fma_f32 v50, 0xbf7ba420, v43, -v85
	s_delay_alu instid0(VALU_DEP_4) | instskip(SKIP_3) | instid1(VALU_DEP_4)
	v_mul_f32_e32 v60, 0xbf763a35, v126
	v_dual_mul_f32 v66, 0xbf763a35, v127 :: v_dual_sub_f32 v129, v28, v14
	v_add_f32_e32 v35, v48, v35
	v_add_f32_e32 v45, v49, v45
	v_dual_fmamk_f32 v51, v46, 0xbe8c1d8e, v60 :: v_dual_sub_f32 v128, v29, v15
	v_dual_add_f32 v44, v50, v44 :: v_dual_add_f32 v49, v15, v29
	v_fma_f32 v50, 0xbe8c1d8e, v47, -v66
	v_mul_f32_e32 v88, 0x3f06c442, v126
	s_delay_alu instid0(VALU_DEP_4) | instskip(SKIP_1) | instid1(VALU_DEP_4)
	v_dual_add_f32 v34, v51, v34 :: v_dual_mul_f32 v63, 0xbf4c4adb, v128
	v_add_f32_e32 v48, v14, v28
	v_add_f32_e32 v35, v50, v35
	s_delay_alu instid0(VALU_DEP_4) | instskip(SKIP_3) | instid1(VALU_DEP_4)
	v_fmamk_f32 v51, v46, 0xbf59a7d5, v88
	v_mul_f32_e32 v98, 0x3f06c442, v127
	v_mul_f32_e32 v68, 0xbf4c4adb, v129
	v_dual_mul_f32 v114, 0x3f763a35, v129 :: v_dual_sub_f32 v131, v30, v12
	v_add_f32_e32 v45, v51, v45
	s_delay_alu instid0(VALU_DEP_4) | instskip(SKIP_3) | instid1(VALU_DEP_4)
	v_fma_f32 v52, 0xbf59a7d5, v47, -v98
	v_add_f32_e32 v51, v13, v31
	v_dual_fmamk_f32 v53, v48, 0xbf1a4643, v63 :: v_dual_sub_f32 v130, v31, v13
	v_fma_f32 v50, 0xbf1a4643, v49, -v68
	v_add_f32_e32 v44, v52, v44
	s_delay_alu instid0(VALU_DEP_3) | instskip(SKIP_1) | instid1(VALU_DEP_4)
	v_dual_mul_f32 v93, 0x3f763a35, v128 :: v_dual_add_f32 v34, v53, v34
	v_fma_f32 v53, 0xbe8c1d8e, v49, -v114
	v_dual_add_f32 v35, v50, v35 :: v_dual_add_f32 v50, v12, v30
	v_mul_f32_e32 v69, 0xbf06c442, v131
	s_delay_alu instid0(VALU_DEP_4) | instskip(SKIP_3) | instid1(VALU_DEP_4)
	v_fmamk_f32 v52, v48, 0xbe8c1d8e, v93
	v_dual_mul_f32 v94, 0x3f65296c, v130 :: v_dual_mul_f32 v121, 0x3f65296c, v131
	v_dual_add_f32 v44, v53, v44 :: v_dual_sub_f32 v133, v16, v18
	v_dual_add_f32 v53, v19, v17 :: v_dual_mul_f32 v64, 0xbf06c442, v130
	v_add_f32_e32 v45, v52, v45
	v_fma_f32 v52, 0xbf59a7d5, v51, -v69
	v_fmamk_f32 v70, v50, 0x3ee437d1, v94
	s_delay_alu instid0(VALU_DEP_4) | instskip(SKIP_1) | instid1(VALU_DEP_3)
	v_dual_sub_f32 v132, v17, v19 :: v_dual_fmamk_f32 v67, v50, 0xbf59a7d5, v64
	v_mul_f32_e32 v119, 0x3eb8f4ab, v133
	v_dual_add_f32 v35, v52, v35 :: v_dual_add_f32 v76, v70, v45
	s_delay_alu instid0(VALU_DEP_3)
	v_dual_mul_f32 v113, 0x3eb8f4ab, v132 :: v_dual_add_f32 v34, v67, v34
	v_mul_f32_e32 v67, 0xbe3c28d5, v132
	v_fma_f32 v45, 0x3ee437d1, v51, -v121
	v_add_f32_e32 v52, v18, v16
	v_mul_f32_e32 v70, 0xbe3c28d5, v133
	v_fma_f32 v81, 0x3f6eb680, v53, -v119
	s_barrier_signal -1
	s_delay_alu instid0(VALU_DEP_3) | instskip(NEXT) | instid1(VALU_DEP_3)
	v_dual_add_f32 v79, v45, v44 :: v_dual_fmamk_f32 v80, v52, 0x3f6eb680, v113
	v_fma_f32 v45, 0xbf7ba420, v53, -v70
	v_fmamk_f32 v44, v52, 0xbf7ba420, v67
	s_barrier_wait -1
	s_delay_alu instid0(VALU_DEP_3) | instskip(NEXT) | instid1(VALU_DEP_2)
	v_dual_add_f32 v81, v81, v79 :: v_dual_add_f32 v80, v80, v76
	v_dual_add_f32 v45, v45, v35 :: v_dual_add_f32 v44, v44, v34
	global_inv scope:SCOPE_SE
	s_and_saveexec_b32 s0, vcc_lo
	s_cbranch_execz .LBB0_7
; %bb.6:
	v_dual_mul_f32 v112, 0xbe3c28d5, v91 :: v_dual_mul_f32 v107, 0xbe3c28d5, v77
	v_dual_mul_f32 v92, 0x3f2c7751, v123 :: v_dual_mul_f32 v95, 0x3f2c7751, v116
	;; [unrolled: 1-line block ×3, first 2 shown]
	s_delay_alu instid0(VALU_DEP_3) | instskip(SKIP_1) | instid1(VALU_DEP_4)
	v_fmamk_f32 v34, v38, 0xbf7ba420, v112
	v_mul_f32_e32 v109, 0x3eb8f4ab, v84
	v_fmamk_f32 v90, v43, 0x3f3d2fb0, v92
	v_mul_f32_e32 v110, 0x3f65296c, v84
	v_mul_f32_e32 v86, 0x3f65296c, v129
	s_delay_alu instid0(VALU_DEP_4) | instskip(SKIP_1) | instid1(VALU_DEP_4)
	v_dual_add_f32 v34, v34, v1 :: v_dual_fmamk_f32 v35, v39, 0x3f6eb680, v109
	v_mul_f32_e32 v89, 0xbf4c4adb, v127
	v_fmamk_f32 v115, v39, 0x3ee437d1, v110
	v_mul_f32_e32 v106, 0xbf06c442, v91
	s_delay_alu instid0(VALU_DEP_4) | instskip(SKIP_2) | instid1(VALU_DEP_4)
	v_dual_fmamk_f32 v79, v41, 0xbf59a7d5, v105 :: v_dual_add_f32 v34, v35, v34
	v_fma_f32 v35, 0xbf7ba420, v36, -v107
	v_dual_mul_f32 v125, 0x3f65296c, v82 :: v_dual_add_f32 v2, v2, v0
	v_fmamk_f32 v102, v38, 0xbf59a7d5, v106
	s_delay_alu instid0(VALU_DEP_4) | instskip(NEXT) | instid1(VALU_DEP_4)
	v_dual_mul_f32 v83, 0xbf763a35, v131 :: v_dual_add_f32 v34, v79, v34
	v_add_f32_e32 v35, v35, v0
	s_delay_alu instid0(VALU_DEP_3) | instskip(NEXT) | instid1(VALU_DEP_3)
	v_dual_mul_f32 v87, 0xbf4c4adb, v126 :: v_dual_add_f32 v104, v102, v1
	v_dual_mul_f32 v79, 0x3f65296c, v128 :: v_dual_add_f32 v34, v90, v34
	v_fma_f32 v90, 0xbf59a7d5, v40, -v96
	s_delay_alu instid0(VALU_DEP_3) | instskip(SKIP_3) | instid1(VALU_DEP_4)
	v_dual_mul_f32 v100, 0x3eb8f4ab, v82 :: v_dual_add_f32 v115, v115, v104
	v_fma_f32 v136, 0x3ee437d1, v37, -v125
	v_mul_f32_e32 v140, 0xbf2c7751, v129
	v_mul_f32_e32 v142, 0xbe3c28d5, v131
	v_fma_f32 v99, 0x3f6eb680, v37, -v100
	v_mul_f32_e32 v76, 0x3f7ee86f, v133
	v_mul_f32_e32 v146, 0xbf763a35, v77
	;; [unrolled: 1-line block ×3, first 2 shown]
	s_delay_alu instid0(VALU_DEP_4)
	v_dual_mul_f32 v158, 0xbe3c28d5, v84 :: v_dual_add_f32 v35, v99, v35
	v_fmamk_f32 v99, v49, 0x3ee437d1, v86
	v_mul_f32_e32 v156, 0xbe3c28d5, v82
	v_mul_f32_e32 v152, 0xbf65296c, v123
	;; [unrolled: 1-line block ×3, first 2 shown]
	v_dual_add_f32 v35, v90, v35 :: v_dual_fmamk_f32 v90, v51, 0xbe8c1d8e, v83
	v_fmamk_f32 v101, v47, 0xbf1a4643, v89
	v_mul_f32_e32 v103, 0xbf7ee86f, v111
	v_mul_f32_e32 v154, 0x3f7ee86f, v129
	;; [unrolled: 1-line block ×4, first 2 shown]
	v_add_f32_e32 v34, v101, v34
	v_fma_f32 v101, 0x3f3d2fb0, v42, -v95
	v_dual_fmamk_f32 v120, v41, 0x3dbcf732, v103 :: v_dual_add_f32 v3, v3, v1
	v_mul_f32_e32 v166, 0xbf65296c, v91
	s_delay_alu instid0(VALU_DEP_4) | instskip(SKIP_3) | instid1(VALU_DEP_4)
	v_add_f32_e32 v34, v99, v34
	v_fma_f32 v99, 0xbf1a4643, v46, -v87
	v_add_f32_e32 v35, v101, v35
	v_fmamk_f32 v101, v53, 0x3dbcf732, v76
	v_dual_add_f32 v115, v120, v115 :: v_dual_add_f32 v34, v90, v34
	v_mul_f32_e32 v104, 0x3f4c4adb, v123
	s_delay_alu instid0(VALU_DEP_4) | instskip(SKIP_4) | instid1(VALU_DEP_4)
	v_add_f32_e32 v35, v99, v35
	v_fma_f32 v99, 0x3ee437d1, v48, -v79
	v_mul_f32_e32 v90, 0xbeb8f4ab, v127
	v_dual_mul_f32 v102, 0xbf763a35, v130 :: v_dual_add_f32 v3, v25, v3
	v_fmac_f32_e32 v95, 0x3f3d2fb0, v42
	v_add_f32_e32 v99, v99, v35
	v_dual_add_f32 v35, v101, v34 :: v_dual_fmamk_f32 v120, v43, 0xbf1a4643, v104
	v_mul_f32_e32 v124, 0xbf06c442, v77
	v_fma_f32 v122, 0xbe8c1d8e, v50, -v102
	v_add_f32_e32 v2, v24, v2
	v_fmac_f32_e32 v87, 0xbf1a4643, v46
	v_add_f32_e32 v101, v120, v115
	v_fma_f32 v120, 0xbf59a7d5, v36, -v124
	v_dual_add_f32 v34, v122, v99 :: v_dual_fmamk_f32 v115, v47, 0x3f6eb680, v90
	v_dual_add_f32 v3, v27, v3 :: v_dual_add_f32 v2, v26, v2
	s_delay_alu instid0(VALU_DEP_3) | instskip(SKIP_1) | instid1(VALU_DEP_4)
	v_dual_mul_f32 v27, 0xbf4c4adb, v91 :: v_dual_add_f32 v120, v120, v0
	v_mul_f32_e32 v99, 0xbe3c28d5, v129
	v_add_f32_e32 v134, v115, v101
	v_mul_f32_e32 v115, 0xbf7ee86f, v97
	v_mul_f32_e32 v101, 0x3f2c7751, v131
	v_add_f32_e32 v3, v21, v3
	v_fmamk_f32 v135, v49, 0xbf7ba420, v99
	v_mul_f32_e32 v24, 0xbe3c28d5, v128
	v_fmac_f32_e32 v100, 0x3f6eb680, v37
	s_delay_alu instid0(VALU_DEP_4) | instskip(NEXT) | instid1(VALU_DEP_4)
	v_dual_fmac_f32 v124, 0xbf59a7d5, v36 :: v_dual_add_f32 v3, v23, v3
	v_dual_add_f32 v135, v135, v134 :: v_dual_add_f32 v134, v136, v120
	v_fma_f32 v136, 0x3dbcf732, v40, -v115
	v_mul_f32_e32 v120, 0x3f4c4adb, v116
	s_delay_alu instid0(VALU_DEP_4) | instskip(SKIP_1) | instid1(VALU_DEP_4)
	v_dual_add_f32 v2, v20, v2 :: v_dual_add_f32 v3, v29, v3
	v_fma_f32 v20, 0xbf7ba420, v48, -v24
	v_add_f32_e32 v136, v136, v134
	v_fmamk_f32 v138, v51, 0x3f3d2fb0, v101
	v_mul_f32_e32 v122, 0x3f7ee86f, v132
	v_mul_f32_e32 v134, 0xbeb8f4ab, v126
	v_add_f32_e32 v2, v22, v2
	s_delay_alu instid0(VALU_DEP_4) | instskip(NEXT) | instid1(VALU_DEP_4)
	v_dual_fmac_f32 v102, 0xbe8c1d8e, v50 :: v_dual_add_f32 v25, v138, v135
	v_fma_f32 v137, 0x3dbcf732, v52, -v122
	v_mul_f32_e32 v149, 0xbeb8f4ab, v131
	v_mul_f32_e32 v151, 0x3f2c7751, v111
	;; [unrolled: 1-line block ×3, first 2 shown]
	s_delay_alu instid0(VALU_DEP_4)
	v_dual_mul_f32 v157, 0xbf7ee86f, v91 :: v_dual_add_f32 v34, v137, v34
	v_fma_f32 v137, 0xbf1a4643, v42, -v120
	v_mul_f32_e32 v155, 0xbf7ee86f, v77
	v_mul_f32_e32 v143, 0xbf763a35, v91
	;; [unrolled: 1-line block ×4, first 2 shown]
	v_add_f32_e32 v135, v137, v136
	v_fma_f32 v136, 0x3f6eb680, v46, -v134
	v_dual_mul_f32 v137, 0xbf06c442, v123 :: v_dual_add_f32 v2, v28, v2
	v_dual_add_f32 v28, v31, v3 :: v_dual_mul_f32 v161, 0xbf06c442, v129
	s_delay_alu instid0(VALU_DEP_3)
	v_dual_add_f32 v26, v136, v135 :: v_dual_mul_f32 v135, 0x3f763a35, v84
	v_fmamk_f32 v136, v38, 0xbf1a4643, v27
	v_mul_f32_e32 v21, 0x3f2c7751, v130
	v_fmamk_f32 v139, v43, 0xbf59a7d5, v137
	v_dual_mul_f32 v22, 0xbf763a35, v133 :: v_dual_add_f32 v29, v30, v2
	v_add_f32_e32 v23, v20, v26
	v_add_f32_e32 v20, v136, v1
	s_delay_alu instid0(VALU_DEP_3) | instskip(SKIP_3) | instid1(VALU_DEP_4)
	v_dual_fmamk_f32 v26, v39, 0xbe8c1d8e, v135 :: v_dual_fmamk_f32 v3, v53, 0xbe8c1d8e, v22
	v_fma_f32 v138, 0x3f3d2fb0, v50, -v21
	v_mul_f32_e32 v136, 0xbeb8f4ab, v111
	v_add_f32_e32 v16, v16, v29
	v_dual_add_f32 v26, v26, v20 :: v_dual_add_f32 v3, v3, v25
	v_mul_f32_e32 v29, 0x3f763a35, v82
	s_delay_alu instid0(VALU_DEP_4) | instskip(SKIP_3) | instid1(VALU_DEP_4)
	v_fmamk_f32 v2, v41, 0x3f6eb680, v136
	v_dual_add_f32 v30, v138, v23 :: v_dual_add_f32 v17, v17, v28
	v_mul_f32_e32 v23, 0x3f7ee86f, v127
	v_fma_f32 v27, 0xbf1a4643, v38, -v27
	v_add_f32_e32 v138, v2, v26
	v_fma_f32 v22, 0xbe8c1d8e, v53, -v22
	v_dual_add_f32 v17, v19, v17 :: v_dual_mul_f32 v20, 0xbf763a35, v132
	v_fma_f32 v19, 0xbe8c1d8e, v37, -v29
	s_delay_alu instid0(VALU_DEP_4) | instskip(NEXT) | instid1(VALU_DEP_3)
	v_add_f32_e32 v25, v139, v138
	v_dual_mul_f32 v138, 0xbe3c28d5, v126 :: v_dual_add_f32 v13, v13, v17
	s_delay_alu instid0(VALU_DEP_4)
	v_fma_f32 v31, 0xbe8c1d8e, v52, -v20
	v_mul_f32_e32 v17, 0xbf06c442, v116
	v_add_f32_e32 v18, v18, v16
	v_mul_f32_e32 v16, 0xbeb8f4ab, v97
	v_add_f32_e32 v15, v15, v13
	v_add_f32_e32 v2, v31, v30
	v_mul_f32_e32 v26, 0xbf4c4adb, v77
	v_mul_f32_e32 v13, 0x3f7ee86f, v126
	v_mul_f32_e32 v139, 0x3f7ee86f, v128
	v_dual_add_f32 v9, v9, v15 :: v_dual_add_f32 v12, v12, v18
	s_delay_alu instid0(VALU_DEP_4) | instskip(SKIP_1) | instid1(VALU_DEP_3)
	v_fma_f32 v31, 0xbf1a4643, v36, -v26
	v_fmac_f32_e32 v122, 0x3dbcf732, v52
	v_dual_fmac_f32 v20, 0xbe8c1d8e, v52 :: v_dual_add_f32 v9, v11, v9
	s_delay_alu instid0(VALU_DEP_4) | instskip(NEXT) | instid1(VALU_DEP_4)
	v_add_f32_e32 v14, v14, v12
	v_dual_add_f32 v28, v31, v0 :: v_dual_mul_f32 v11, 0xbe3c28d5, v130
	s_delay_alu instid0(VALU_DEP_3) | instskip(NEXT) | instid1(VALU_DEP_3)
	v_dual_mul_f32 v12, 0xbf2c7751, v128 :: v_dual_add_f32 v5, v5, v9
	v_add_f32_e32 v8, v8, v14
	s_delay_alu instid0(VALU_DEP_3)
	v_add_f32_e32 v18, v19, v28
	v_fmamk_f32 v28, v49, 0x3f3d2fb0, v140
	v_fma_f32 v19, 0x3f6eb680, v40, -v16
	v_add_f32_e32 v169, v7, v5
	v_fmamk_f32 v30, v47, 0x3dbcf732, v23
	v_fma_f32 v15, 0x3f3d2fb0, v48, -v12
	v_add_f32_e32 v8, v10, v8
	v_fmamk_f32 v9, v38, 0xbe8c1d8e, v143
	v_mul_f32_e32 v31, 0xbf65296c, v116
	v_dual_add_f32 v25, v30, v25 :: v_dual_mul_f32 v10, 0x3f65296c, v132
	s_delay_alu instid0(VALU_DEP_4) | instskip(SKIP_1) | instid1(VALU_DEP_3)
	v_add_f32_e32 v4, v4, v8
	v_fma_f32 v8, 0xbf7ba420, v50, -v11
	v_dual_mul_f32 v30, 0x3eb8f4ab, v116 :: v_dual_add_f32 v25, v28, v25
	v_fmamk_f32 v28, v51, 0xbf7ba420, v142
	s_delay_alu instid0(VALU_DEP_4) | instskip(SKIP_1) | instid1(VALU_DEP_4)
	v_add_f32_e32 v170, v6, v4
	v_fma_f32 v7, 0x3ee437d1, v52, -v10
	v_fma_f32 v141, 0x3f6eb680, v42, -v30
	;; [unrolled: 1-line block ×3, first 2 shown]
	v_dual_add_f32 v25, v28, v25 :: v_dual_add_f32 v18, v19, v18
	v_fma_f32 v19, 0xbf59a7d5, v42, -v17
	v_mul_f32_e32 v28, 0x3f65296c, v133
	v_fmac_f32_e32 v96, 0xbf59a7d5, v40
	v_fmac_f32_e32 v26, 0xbf1a4643, v36
	;; [unrolled: 1-line block ×3, first 2 shown]
	v_add_f32_e32 v18, v19, v18
	v_fma_f32 v19, 0x3dbcf732, v46, -v13
	v_fmamk_f32 v4, v53, 0x3ee437d1, v28
	v_dual_fmac_f32 v13, 0x3dbcf732, v46 :: v_dual_add_f32 v26, v26, v0
	s_delay_alu instid0(VALU_DEP_3) | instskip(NEXT) | instid1(VALU_DEP_3)
	v_dual_mul_f32 v145, 0x3f763a35, v97 :: v_dual_add_f32 v14, v19, v18
	v_add_f32_e32 v5, v4, v25
	v_fma_f32 v19, 0xbf7ba420, v37, -v156
	v_mul_f32_e32 v144, 0x3f06c442, v84
	v_mul_f32_e32 v18, 0xbeb8f4ab, v130
	v_add_f32_e32 v14, v15, v14
	v_fmamk_f32 v25, v47, 0x3ee437d1, v160
	v_mul_f32_e32 v163, 0xbf4c4adb, v132
	v_fmamk_f32 v91, v38, 0x3ee437d1, v166
	v_fma_f32 v15, 0x3f6eb680, v50, -v18
	v_add_f32_e32 v6, v8, v14
	v_add_f32_e32 v8, v9, v1
	v_fma_f32 v9, 0xbe8c1d8e, v36, -v146
	v_fmamk_f32 v14, v39, 0xbf59a7d5, v144
	v_fma_f32 v167, 0xbf1a4643, v52, -v163
	v_mul_f32_e32 v97, 0x3e3c28d5, v97
	s_delay_alu instid0(VALU_DEP_4) | instskip(SKIP_2) | instid1(VALU_DEP_4)
	v_dual_mul_f32 v123, 0x3f763a35, v123 :: v_dual_add_f32 v4, v9, v0
	v_fma_f32 v9, 0xbf59a7d5, v37, -v147
	v_mul_f32_e32 v127, 0x3f2c7751, v127
	v_fma_f32 v171, 0xbf7ba420, v40, -v97
	v_add_f32_e32 v33, v33, v169
	v_fmac_f32_e32 v115, 0x3dbcf732, v40
	v_add_f32_e32 v4, v9, v4
	v_fma_f32 v9, 0x3f3d2fb0, v40, -v148
	v_fmamk_f32 v172, v47, 0x3f3d2fb0, v127
	v_fmac_f32_e32 v107, 0xbf7ba420, v36
	v_fmac_f32_e32 v79, 0x3ee437d1, v48
	s_delay_alu instid0(VALU_DEP_4) | instskip(SKIP_4) | instid1(VALU_DEP_4)
	v_dual_fmac_f32 v125, 0x3ee437d1, v37 :: v_dual_add_f32 v4, v9, v4
	v_fma_f32 v9, 0x3ee437d1, v42, -v31
	v_fmac_f32_e32 v31, 0x3ee437d1, v42
	v_add_f32_e32 v27, v27, v1
	v_fmac_f32_e32 v21, 0x3f3d2fb0, v50
	v_dual_fmac_f32 v17, 0xbf59a7d5, v42 :: v_dual_add_f32 v4, v9, v4
	v_fma_f32 v9, 0xbf7ba420, v46, -v138
	v_fmac_f32_e32 v29, 0xbe8c1d8e, v37
	v_fmac_f32_e32 v11, 0xbf7ba420, v50
	;; [unrolled: 1-line block ×3, first 2 shown]
	s_delay_alu instid0(VALU_DEP_4) | instskip(SKIP_4) | instid1(VALU_DEP_4)
	v_dual_fmac_f32 v147, 0xbf59a7d5, v37 :: v_dual_add_f32 v4, v9, v4
	v_fma_f32 v9, 0x3dbcf732, v48, -v139
	v_fmac_f32_e32 v139, 0x3dbcf732, v48
	v_fmac_f32_e32 v163, 0xbf1a4643, v52
	;; [unrolled: 1-line block ×3, first 2 shown]
	v_dual_add_f32 v9, v9, v4 :: v_dual_add_f32 v4, v7, v6
	v_fmamk_f32 v7, v38, 0x3dbcf732, v157
	v_add_f32_e32 v8, v14, v8
	s_delay_alu instid0(VALU_DEP_2) | instskip(SKIP_1) | instid1(VALU_DEP_2)
	v_dual_fmamk_f32 v14, v41, 0x3f3d2fb0, v151 :: v_dual_add_f32 v7, v7, v1
	v_fmac_f32_e32 v12, 0x3f3d2fb0, v48
	v_add_f32_e32 v8, v14, v8
	v_fmamk_f32 v14, v43, 0x3ee437d1, v152
	s_delay_alu instid0(VALU_DEP_1) | instskip(SKIP_1) | instid1(VALU_DEP_1)
	v_add_f32_e32 v8, v14, v8
	v_fmamk_f32 v14, v47, 0xbf7ba420, v153
	v_add_f32_e32 v8, v14, v8
	v_fmamk_f32 v14, v49, 0x3dbcf732, v154
	s_delay_alu instid0(VALU_DEP_1) | instskip(SKIP_1) | instid1(VALU_DEP_1)
	v_add_f32_e32 v8, v14, v8
	v_fmamk_f32 v14, v51, 0x3f6eb680, v149
	v_add_f32_e32 v6, v14, v8
	v_add_f32_e32 v8, v15, v9
	v_fmamk_f32 v9, v39, 0xbf7ba420, v158
	v_fma_f32 v15, 0x3dbcf732, v36, -v155
	v_fmamk_f32 v14, v53, 0xbf1a4643, v150
	v_fmac_f32_e32 v155, 0x3dbcf732, v36
	s_delay_alu instid0(VALU_DEP_4) | instskip(SKIP_2) | instid1(VALU_DEP_2)
	v_add_f32_e32 v7, v9, v7
	v_fmamk_f32 v9, v41, 0xbe8c1d8e, v162
	v_add_f32_e32 v15, v15, v0
	v_dual_fmac_f32 v146, 0xbe8c1d8e, v36 :: v_dual_add_f32 v7, v9, v7
	v_fmamk_f32 v9, v43, 0x3f6eb680, v159
	s_delay_alu instid0(VALU_DEP_3) | instskip(SKIP_2) | instid1(VALU_DEP_4)
	v_add_f32_e32 v15, v19, v15
	v_fma_f32 v19, 0xbe8c1d8e, v40, -v145
	v_fmac_f32_e32 v10, 0x3ee437d1, v52
	v_dual_fmac_f32 v134, 0x3f6eb680, v46 :: v_dual_add_f32 v9, v9, v7
	v_add_f32_e32 v7, v14, v6
	s_delay_alu instid0(VALU_DEP_4)
	v_add_f32_e32 v15, v19, v15
	v_mul_f32_e32 v19, 0xbf65296c, v126
	v_fmac_f32_e32 v148, 0x3f3d2fb0, v40
	v_add_f32_e32 v6, v25, v9
	v_fmamk_f32 v9, v49, 0xbf59a7d5, v161
	v_add_f32_e32 v14, v141, v15
	v_fma_f32 v25, 0x3ee437d1, v46, -v19
	v_mul_f32_e32 v15, 0xbf06c442, v128
	s_delay_alu instid0(VALU_DEP_4) | instskip(SKIP_1) | instid1(VALU_DEP_4)
	v_dual_mul_f32 v141, 0x3f4c4adb, v131 :: v_dual_add_f32 v6, v9, v6
	v_fmac_f32_e32 v19, 0x3ee437d1, v46
	v_add_f32_e32 v9, v25, v14
	s_delay_alu instid0(VALU_DEP_4)
	v_fma_f32 v164, 0xbf59a7d5, v48, -v15
	v_mul_f32_e32 v14, 0x3f4c4adb, v130
	v_fmamk_f32 v165, v51, 0xbf1a4643, v141
	v_mul_f32_e32 v25, 0x3f2c7751, v133
	v_fmac_f32_e32 v15, 0xbf59a7d5, v48
	v_add_f32_e32 v9, v164, v9
	v_fma_f32 v164, 0xbf1a4643, v50, -v14
	v_add_f32_e32 v165, v165, v6
	v_fmamk_f32 v168, v53, 0x3f3d2fb0, v25
	v_add_f32_e32 v6, v167, v8
	s_delay_alu instid0(VALU_DEP_4) | instskip(SKIP_1) | instid1(VALU_DEP_4)
	v_dual_mul_f32 v167, 0xbf4c4adb, v84 :: v_dual_add_f32 v8, v164, v9
	v_mul_f32_e32 v164, 0xbf65296c, v77
	v_add_f32_e32 v9, v168, v165
	v_dual_mul_f32 v165, 0xbf4c4adb, v82 :: v_dual_add_f32 v82, v91, v1
	s_delay_alu instid0(VALU_DEP_4) | instskip(NEXT) | instid1(VALU_DEP_4)
	v_fmamk_f32 v91, v39, 0xbf1a4643, v167
	v_fma_f32 v84, 0x3ee437d1, v36, -v164
	v_mul_f32_e32 v168, 0x3e3c28d5, v111
	s_delay_alu instid0(VALU_DEP_4) | instskip(NEXT) | instid1(VALU_DEP_4)
	v_fma_f32 v111, 0xbf1a4643, v37, -v165
	v_dual_mul_f32 v77, 0x3f2c7751, v132 :: v_dual_add_f32 v82, v91, v82
	s_delay_alu instid0(VALU_DEP_3) | instskip(SKIP_2) | instid1(VALU_DEP_3)
	v_dual_add_f32 v84, v84, v0 :: v_dual_fmamk_f32 v91, v41, 0xbf7ba420, v168
	v_fmac_f32_e32 v138, 0xbf7ba420, v46
	v_fmac_f32_e32 v165, 0xbf1a4643, v37
	v_dual_fmac_f32 v145, 0xbe8c1d8e, v40 :: v_dual_add_f32 v82, v91, v82
	v_fmamk_f32 v91, v43, 0xbe8c1d8e, v123
	v_add_f32_e32 v84, v111, v84
	v_mul_f32_e32 v111, 0x3f763a35, v116
	v_mul_f32_e32 v116, 0x3f2c7751, v126
	s_delay_alu instid0(VALU_DEP_4) | instskip(NEXT) | instid1(VALU_DEP_4)
	v_dual_mul_f32 v126, 0xbeb8f4ab, v129 :: v_dual_add_f32 v91, v91, v82
	v_add_f32_e32 v84, v171, v84
	s_delay_alu instid0(VALU_DEP_4) | instskip(NEXT) | instid1(VALU_DEP_4)
	v_fma_f32 v171, 0xbe8c1d8e, v42, -v111
	v_fma_f32 v129, 0x3f3d2fb0, v46, -v116
	v_mul_f32_e32 v82, 0xbeb8f4ab, v128
	v_add_f32_e32 v128, v172, v91
	s_delay_alu instid0(VALU_DEP_4) | instskip(SKIP_1) | instid1(VALU_DEP_4)
	v_dual_mul_f32 v91, 0xbf7ee86f, v131 :: v_dual_add_f32 v84, v171, v84
	v_fmamk_f32 v171, v49, 0x3f6eb680, v126
	v_fma_f32 v131, 0x3f6eb680, v48, -v82
	v_mul_f32_e32 v172, 0x3f3d2fb0, v38
	v_fmac_f32_e32 v111, 0xbe8c1d8e, v42
	v_dual_add_f32 v129, v129, v84 :: v_dual_mul_f32 v84, 0xbf7ee86f, v130
	v_fma_f32 v130, 0x3f3d2fb0, v52, -v77
	v_add_f32_e32 v128, v171, v128
	v_fmamk_f32 v171, v51, 0x3dbcf732, v91
	s_delay_alu instid0(VALU_DEP_4) | instskip(SKIP_4) | instid1(VALU_DEP_4)
	v_add_f32_e32 v129, v131, v129
	v_fma_f32 v131, 0x3dbcf732, v50, -v84
	v_add_f32_e32 v8, v130, v8
	v_fmac_f32_e32 v77, 0x3f3d2fb0, v52
	v_dual_add_f32 v130, v171, v128 :: v_dual_mul_f32 v171, 0x3dbcf732, v39
	v_add_f32_e32 v129, v131, v129
	v_add_f32_e32 v131, v71, v172
	v_mul_f32_e32 v71, 0xbf06c442, v132
	v_mul_f32_e32 v132, 0x3f3d2fb0, v36
	;; [unrolled: 1-line block ×3, first 2 shown]
	s_delay_alu instid0(VALU_DEP_4) | instskip(SKIP_3) | instid1(VALU_DEP_3)
	v_dual_add_f32 v74, v74, v171 :: v_dual_add_f32 v131, v131, v1
	v_mul_f32_e32 v133, 0xbf1a4643, v41
	v_mul_f32_e32 v172, 0x3dbcf732, v37
	v_dual_sub_f32 v65, v132, v65 :: v_dual_mul_f32 v132, 0xbf1a4643, v40
	v_dual_add_f32 v74, v74, v131 :: v_dual_add_f32 v75, v75, v133
	s_delay_alu instid0(VALU_DEP_3) | instskip(NEXT) | instid1(VALU_DEP_3)
	v_dual_mul_f32 v131, 0xbf7ba420, v43 :: v_dual_sub_f32 v72, v172, v72
	v_dual_add_f32 v65, v65, v0 :: v_dual_fmac_f32 v156, 0xbf7ba420, v37
	s_delay_alu instid0(VALU_DEP_2) | instskip(SKIP_1) | instid1(VALU_DEP_3)
	v_dual_add_f32 v74, v75, v74 :: v_dual_add_f32 v75, v85, v131
	v_mul_f32_e32 v85, 0xbf59a7d5, v47
	v_add_f32_e32 v65, v72, v65
	v_dual_sub_f32 v72, v132, v73 :: v_dual_mul_f32 v73, 0xbf7ba420, v42
	s_delay_alu instid0(VALU_DEP_3) | instskip(SKIP_1) | instid1(VALU_DEP_3)
	v_dual_add_f32 v74, v75, v74 :: v_dual_add_f32 v75, v98, v85
	v_mul_f32_e32 v85, 0xbe8c1d8e, v49
	v_dual_add_f32 v65, v72, v65 :: v_dual_sub_f32 v72, v73, v78
	v_mul_f32_e32 v78, 0xbf59a7d5, v46
	s_delay_alu instid0(VALU_DEP_3) | instskip(SKIP_1) | instid1(VALU_DEP_3)
	v_dual_add_f32 v74, v75, v74 :: v_dual_add_f32 v75, v114, v85
	v_mul_f32_e32 v85, 0xbe8c1d8e, v48
	v_dual_add_f32 v65, v72, v65 :: v_dual_sub_f32 v78, v78, v88
	v_fma_f32 v88, 0xbf59a7d5, v52, -v71
	v_fmac_f32_e32 v71, 0xbf59a7d5, v52
	v_fmac_f32_e32 v18, 0x3f6eb680, v50
	s_delay_alu instid0(VALU_DEP_4) | instskip(SKIP_3) | instid1(VALU_DEP_3)
	v_dual_fmac_f32 v24, 0xbf7ba420, v48 :: v_dual_add_f32 v65, v78, v65
	v_dual_sub_f32 v78, v85, v93 :: v_dual_mul_f32 v85, 0x3f6eb680, v38
	v_fmac_f32_e32 v164, 0x3ee437d1, v36
	v_fmac_f32_e32 v30, 0x3f6eb680, v42
	v_dual_fmac_f32 v116, 0x3f3d2fb0, v46 :: v_dual_add_f32 v65, v78, v65
	v_mul_f32_e32 v78, 0x3f3d2fb0, v39
	v_add_f32_e32 v56, v56, v85
	v_mul_f32_e32 v85, 0x3f6eb680, v53
	v_fmac_f32_e32 v14, 0xbf1a4643, v50
	v_fmac_f32_e32 v82, 0x3f6eb680, v48
	v_add_f32_e32 v58, v58, v78
	v_add_f32_e32 v56, v56, v1
	;; [unrolled: 1-line block ×3, first 2 shown]
	v_mul_f32_e32 v85, 0x3ee437d1, v41
	v_fmac_f32_e32 v84, 0x3dbcf732, v50
	s_delay_alu instid0(VALU_DEP_2) | instskip(SKIP_2) | instid1(VALU_DEP_2)
	v_dual_add_f32 v58, v58, v56 :: v_dual_add_f32 v61, v61, v85
	v_mul_f32_e32 v85, 0x3dbcf732, v43
	v_mul_f32_e32 v72, 0x3ee437d1, v51
	v_dual_add_f32 v58, v61, v58 :: v_dual_add_f32 v61, v62, v85
	v_mul_f32_e32 v62, 0xbe8c1d8e, v47
	s_delay_alu instid0(VALU_DEP_2) | instskip(NEXT) | instid1(VALU_DEP_2)
	v_add_f32_e32 v58, v61, v58
	v_dual_add_f32 v61, v66, v62 :: v_dual_mul_f32 v62, 0xbf1a4643, v49
	v_mul_f32_e32 v66, 0x3dbcf732, v42
	v_dual_add_f32 v74, v75, v74 :: v_dual_add_f32 v75, v121, v72
	s_delay_alu instid0(VALU_DEP_3) | instskip(NEXT) | instid1(VALU_DEP_4)
	v_add_f32_e32 v58, v61, v58
	v_add_f32_e32 v61, v68, v62
	;; [unrolled: 1-line block ×3, first 2 shown]
	v_fma_f32 v62, 0xbf7ba420, v38, -v112
	v_add_f32_e32 v74, v75, v74
	v_mul_f32_e32 v75, 0x3ee437d1, v50
	v_dual_add_f32 v58, v61, v58 :: v_dual_mul_f32 v61, 0xbf59a7d5, v51
	s_delay_alu instid0(VALU_DEP_3) | instskip(NEXT) | instid1(VALU_DEP_3)
	v_add_f32_e32 v56, v78, v74
	v_dual_mul_f32 v74, 0x3f3d2fb0, v37 :: v_dual_sub_f32 v75, v75, v94
	v_fmamk_f32 v171, v53, 0xbf59a7d5, v128
	s_delay_alu instid0(VALU_DEP_2) | instskip(NEXT) | instid1(VALU_DEP_3)
	v_dual_sub_f32 v55, v74, v55 :: v_dual_mul_f32 v74, 0x3ee437d1, v40
	v_dual_mul_f32 v88, 0x3f6eb680, v52 :: v_dual_add_f32 v65, v75, v65
	s_delay_alu instid0(VALU_DEP_3) | instskip(NEXT) | instid1(VALU_DEP_3)
	v_add_f32_e32 v73, v171, v130
	v_sub_f32_e32 v57, v74, v57
	s_delay_alu instid0(VALU_DEP_3) | instskip(NEXT) | instid1(VALU_DEP_1)
	v_dual_sub_f32 v75, v88, v113 :: v_dual_mul_f32 v88, 0x3f6eb680, v36
	v_sub_f32_e32 v54, v88, v54
	s_delay_alu instid0(VALU_DEP_1) | instskip(NEXT) | instid1(VALU_DEP_1)
	v_add_f32_e32 v54, v54, v0
	v_add_f32_e32 v54, v55, v54
	s_delay_alu instid0(VALU_DEP_1) | instskip(SKIP_2) | instid1(VALU_DEP_1)
	v_dual_add_f32 v55, v75, v65 :: v_dual_add_f32 v54, v57, v54
	v_sub_f32_e32 v57, v66, v59
	v_mul_f32_e32 v59, 0xbe8c1d8e, v46
	v_dual_add_f32 v54, v57, v54 :: v_dual_sub_f32 v57, v59, v60
	s_delay_alu instid0(VALU_DEP_1) | instskip(NEXT) | instid1(VALU_DEP_1)
	v_dual_mul_f32 v59, 0xbf1a4643, v48 :: v_dual_add_f32 v54, v57, v54
	v_sub_f32_e32 v57, v59, v63
	v_mul_f32_e32 v59, 0xbf59a7d5, v50
	s_delay_alu instid0(VALU_DEP_2) | instskip(NEXT) | instid1(VALU_DEP_2)
	v_dual_mul_f32 v63, 0xbf7ba420, v52 :: v_dual_add_f32 v54, v57, v54
	v_sub_f32_e32 v59, v59, v64
	s_delay_alu instid0(VALU_DEP_1) | instskip(SKIP_3) | instid1(VALU_DEP_3)
	v_dual_mul_f32 v57, 0xbf7ba420, v53 :: v_dual_add_f32 v54, v59, v54
	v_add_f32_e32 v60, v69, v61
	v_add_f32_e32 v61, v62, v1
	v_fma_f32 v62, 0x3f6eb680, v39, -v109
	v_dual_add_f32 v57, v70, v57 :: v_dual_add_f32 v58, v60, v58
	s_delay_alu instid0(VALU_DEP_2) | instskip(SKIP_2) | instid1(VALU_DEP_4)
	v_add_f32_e32 v60, v62, v61
	v_fma_f32 v61, 0xbf59a7d5, v41, -v105
	v_add_f32_e32 v62, v107, v0
	v_add_f32_e32 v58, v57, v58
	s_delay_alu instid0(VALU_DEP_3) | instskip(SKIP_1) | instid1(VALU_DEP_4)
	v_add_f32_e32 v60, v61, v60
	v_fma_f32 v61, 0x3f3d2fb0, v43, -v92
	v_dual_add_f32 v59, v100, v62 :: v_dual_sub_f32 v62, v63, v67
	v_fma_f32 v63, 0xbf1a4643, v43, -v104
	s_delay_alu instid0(VALU_DEP_3) | instskip(SKIP_1) | instid1(VALU_DEP_4)
	v_add_f32_e32 v60, v61, v60
	v_fma_f32 v61, 0xbf1a4643, v47, -v89
	v_add_f32_e32 v59, v96, v59
	v_add_f32_e32 v57, v62, v54
	v_fma_f32 v62, 0x3ee437d1, v39, -v110
	s_delay_alu instid0(VALU_DEP_4) | instskip(SKIP_1) | instid1(VALU_DEP_1)
	v_add_f32_e32 v60, v61, v60
	v_fma_f32 v61, 0x3ee437d1, v49, -v86
	v_add_f32_e32 v54, v61, v60
	v_fma_f32 v60, 0xbe8c1d8e, v51, -v83
	;; [unrolled: 2-line block ×3, first 2 shown]
	s_delay_alu instid0(VALU_DEP_3) | instskip(SKIP_1) | instid1(VALU_DEP_4)
	v_add_f32_e32 v54, v60, v54
	v_fma_f32 v60, 0x3dbcf732, v53, -v76
	v_add_f32_e32 v59, v87, v59
	s_delay_alu instid0(VALU_DEP_2) | instskip(NEXT) | instid1(VALU_DEP_1)
	v_dual_add_f32 v61, v61, v1 :: v_dual_add_f32 v60, v60, v54
	v_dual_add_f32 v54, v79, v59 :: v_dual_add_f32 v59, v62, v61
	v_add_f32_e32 v62, v124, v0
	v_fma_f32 v61, 0x3dbcf732, v41, -v103
	s_delay_alu instid0(VALU_DEP_2) | instskip(NEXT) | instid1(VALU_DEP_1)
	v_add_f32_e32 v62, v125, v62
	v_dual_add_f32 v61, v61, v59 :: v_dual_add_f32 v62, v115, v62
	s_delay_alu instid0(VALU_DEP_1) | instskip(NEXT) | instid1(VALU_DEP_1)
	v_add_f32_e32 v62, v120, v62
	v_add_f32_e32 v62, v134, v62
	s_delay_alu instid0(VALU_DEP_1) | instskip(NEXT) | instid1(VALU_DEP_1)
	v_add_f32_e32 v24, v24, v62
	v_add_f32_e32 v21, v21, v24
	;; [unrolled: 1-line block ×3, first 2 shown]
	v_fma_f32 v26, 0xbf7ba420, v51, -v142
	s_delay_alu instid0(VALU_DEP_3) | instskip(NEXT) | instid1(VALU_DEP_3)
	v_add_f32_e32 v21, v20, v21
	v_add_f32_e32 v16, v16, v24
	v_fma_f32 v24, 0xbf59a7d5, v39, -v144
	s_delay_alu instid0(VALU_DEP_2) | instskip(SKIP_1) | instid1(VALU_DEP_2)
	v_add_f32_e32 v16, v17, v16
	v_fma_f32 v17, 0x3ee437d1, v53, -v28
	v_dual_add_f32 v13, v13, v16 :: v_dual_add_f32 v54, v102, v54
	s_delay_alu instid0(VALU_DEP_1) | instskip(NEXT) | instid1(VALU_DEP_1)
	v_dual_add_f32 v16, v146, v0 :: v_dual_add_f32 v13, v12, v13
	v_dual_add_f32 v59, v122, v54 :: v_dual_add_f32 v16, v147, v16
	v_add_f32_e32 v54, v63, v61
	v_fma_f32 v63, 0xbe8c1d8e, v39, -v135
	v_fma_f32 v61, 0x3f6eb680, v47, -v90
	v_add_f32_e32 v11, v11, v13
	v_add_f32_e32 v13, v148, v16
	s_delay_alu instid0(VALU_DEP_4) | instskip(SKIP_1) | instid1(VALU_DEP_3)
	v_add_f32_e32 v27, v63, v27
	v_fma_f32 v63, 0x3f6eb680, v41, -v136
	v_dual_add_f32 v54, v61, v54 :: v_dual_add_f32 v13, v31, v13
	v_fma_f32 v61, 0xbf7ba420, v49, -v99
	v_add_f32_e32 v11, v10, v11
	s_delay_alu instid0(VALU_DEP_4) | instskip(SKIP_1) | instid1(VALU_DEP_4)
	v_add_f32_e32 v27, v63, v27
	v_fma_f32 v63, 0xbf59a7d5, v43, -v137
	v_dual_add_f32 v13, v138, v13 :: v_dual_add_f32 v54, v61, v54
	v_fma_f32 v61, 0x3f3d2fb0, v51, -v101
	s_delay_alu instid0(VALU_DEP_3) | instskip(NEXT) | instid1(VALU_DEP_2)
	v_add_f32_e32 v27, v63, v27
	v_dual_add_f32 v13, v139, v13 :: v_dual_add_f32 v54, v61, v54
	s_delay_alu instid0(VALU_DEP_2) | instskip(SKIP_1) | instid1(VALU_DEP_3)
	v_add_f32_e32 v23, v23, v27
	v_fma_f32 v27, 0x3f3d2fb0, v49, -v140
	v_dual_add_f32 v13, v18, v13 :: v_dual_add_f32 v18, v155, v0
	s_delay_alu instid0(VALU_DEP_4) | instskip(NEXT) | instid1(VALU_DEP_3)
	v_add_f32_e32 v22, v22, v54
	v_dual_add_f32 v0, v164, v0 :: v_dual_add_f32 v23, v27, v23
	v_fma_f32 v27, 0xbe8c1d8e, v38, -v143
	v_add_f32_e32 v32, v32, v170
	s_delay_alu instid0(VALU_DEP_3) | instskip(NEXT) | instid1(VALU_DEP_3)
	v_add_f32_e32 v0, v165, v0
	v_dual_add_f32 v20, v26, v23 :: v_dual_add_f32 v23, v27, v1
	s_delay_alu instid0(VALU_DEP_2) | instskip(NEXT) | instid1(VALU_DEP_2)
	v_add_f32_e32 v0, v97, v0
	v_dual_add_f32 v12, v17, v20 :: v_dual_add_f32 v23, v24, v23
	v_fma_f32 v24, 0x3f3d2fb0, v41, -v151
	v_fma_f32 v17, 0x3dbcf732, v49, -v154
	;; [unrolled: 1-line block ×3, first 2 shown]
	s_delay_alu instid0(VALU_DEP_3) | instskip(SKIP_1) | instid1(VALU_DEP_3)
	v_dual_add_f32 v0, v111, v0 :: v_dual_add_f32 v23, v24, v23
	v_fma_f32 v24, 0x3ee437d1, v43, -v152
	v_add_f32_e32 v20, v20, v1
	s_delay_alu instid0(VALU_DEP_3) | instskip(NEXT) | instid1(VALU_DEP_3)
	v_add_f32_e32 v0, v116, v0
	v_add_f32_e32 v23, v24, v23
	v_fma_f32 v24, 0xbf7ba420, v47, -v153
	s_delay_alu instid0(VALU_DEP_3) | instskip(NEXT) | instid1(VALU_DEP_2)
	v_add_f32_e32 v0, v82, v0
	v_add_f32_e32 v16, v24, v23
	v_fma_f32 v23, 0xbf7ba420, v39, -v158
	v_fma_f32 v24, 0x3ee437d1, v47, -v160
	s_delay_alu instid0(VALU_DEP_3) | instskip(SKIP_1) | instid1(VALU_DEP_1)
	v_add_f32_e32 v16, v17, v16
	v_fma_f32 v17, 0x3f6eb680, v51, -v149
	v_add_f32_e32 v10, v17, v16
	v_add_f32_e32 v16, v23, v20
	v_fma_f32 v17, 0xbe8c1d8e, v41, -v162
	v_fma_f32 v20, 0xbf1a4643, v53, -v150
	s_delay_alu instid0(VALU_DEP_2) | instskip(SKIP_1) | instid1(VALU_DEP_1)
	v_add_f32_e32 v16, v17, v16
	v_fma_f32 v17, 0x3f6eb680, v43, -v159
	v_add_f32_e32 v23, v17, v16
	s_delay_alu instid0(VALU_DEP_4)
	v_add_f32_e32 v17, v20, v10
	v_add_f32_e32 v10, v156, v18
	;; [unrolled: 1-line block ×3, first 2 shown]
	v_fma_f32 v18, 0xbf59a7d5, v49, -v161
	v_add_f32_e32 v13, v24, v23
	v_fma_f32 v20, 0x3ee437d1, v38, -v166
	s_delay_alu instid0(VALU_DEP_2) | instskip(NEXT) | instid1(VALU_DEP_2)
	v_dual_add_f32 v10, v145, v10 :: v_dual_add_f32 v13, v18, v13
	v_add_f32_e32 v1, v20, v1
	v_fma_f32 v18, 0xbf1a4643, v39, -v167
	s_delay_alu instid0(VALU_DEP_3) | instskip(SKIP_1) | instid1(VALU_DEP_3)
	v_add_f32_e32 v10, v30, v10
	v_fma_f32 v20, 0xbf1a4643, v51, -v141
	v_add_f32_e32 v1, v18, v1
	v_fma_f32 v18, 0xbf7ba420, v41, -v168
	s_delay_alu instid0(VALU_DEP_3) | instskip(SKIP_1) | instid1(VALU_DEP_3)
	v_dual_add_f32 v10, v19, v10 :: v_dual_add_f32 v13, v20, v13
	v_fma_f32 v19, 0xbf59a7d5, v53, -v128
	v_dual_add_f32 v20, v84, v0 :: v_dual_add_f32 v1, v18, v1
	v_fma_f32 v18, 0xbe8c1d8e, v43, -v123
	s_delay_alu instid0(VALU_DEP_4) | instskip(SKIP_1) | instid1(VALU_DEP_3)
	v_add_f32_e32 v10, v15, v10
	v_fma_f32 v15, 0x3f6eb680, v49, -v126
	v_add_f32_e32 v1, v18, v1
	v_fma_f32 v18, 0x3f3d2fb0, v47, -v127
	s_delay_alu instid0(VALU_DEP_4) | instskip(SKIP_1) | instid1(VALU_DEP_3)
	v_add_f32_e32 v10, v14, v10
	v_mul_lo_u16 v14, v118, 17
	v_add_f32_e32 v1, v18, v1
	v_fma_f32 v18, 0x3f3d2fb0, v53, -v25
	s_delay_alu instid0(VALU_DEP_3) | instskip(NEXT) | instid1(VALU_DEP_3)
	v_and_b32_e32 v14, 0xffff, v14
	v_dual_add_f32 v0, v77, v10 :: v_dual_add_f32 v1, v15, v1
	v_fma_f32 v15, 0x3dbcf732, v51, -v91
	s_delay_alu instid0(VALU_DEP_3) | instskip(NEXT) | instid1(VALU_DEP_2)
	v_lshlrev_b32_e32 v23, 3, v14
	v_add_f32_e32 v15, v15, v1
	v_add_f32_e32 v1, v18, v13
	;; [unrolled: 1-line block ×3, first 2 shown]
	s_delay_alu instid0(VALU_DEP_3)
	v_add_f32_e32 v14, v19, v15
	ds_store_2addr_b64 v23, v[32:33], v[57:58] offset1:1
	ds_store_2addr_b64 v23, v[55:56], v[72:73] offset0:2 offset1:3
	ds_store_2addr_b64 v23, v[8:9], v[6:7] offset0:4 offset1:5
	;; [unrolled: 1-line block ×7, first 2 shown]
	ds_store_b64 v23, v[44:45] offset:128
.LBB0_7:
	s_wait_alu 0xfffe
	s_or_b32 exec_lo, exec_lo, s0
	v_and_b32_e32 v0, 0xff, v118
	v_add_co_u32 v84, s0, 0x66, v118
	v_add_co_u32 v4, null, 0x198, v118
	s_delay_alu instid0(VALU_DEP_3) | instskip(NEXT) | instid1(VALU_DEP_3)
	v_mul_lo_u16 v0, 0xf1, v0
	v_and_b32_e32 v1, 0xff, v84
	s_wait_alu 0xf1ff
	v_add_co_ci_u32_e64 v85, null, 0, 0, s0
	v_add_co_u32 v82, s0, 0xcc, v118
	v_lshrrev_b16 v50, 12, v0
	v_mul_lo_u16 v3, 0xf1, v1
	s_load_b128 s[4:7], s[4:5], 0x0
	global_wb scope:SCOPE_SE
	s_wait_dscnt 0x0
	s_wait_kmcnt 0x0
	s_barrier_signal -1
	v_mul_lo_u16 v5, v50, 17
	v_lshrrev_b16 v51, 12, v3
	v_and_b32_e32 v3, 0xffff, v4
	s_barrier_wait -1
	global_inv scope:SCOPE_SE
	v_sub_nc_u16 v5, v118, v5
	v_add_co_u32 v2, null, 0x132, v118
	v_mul_u32_u24_e32 v3, 0xf0f1, v3
	v_add_co_ci_u32_e64 v83, null, 0, 0, s0
	s_delay_alu instid0(VALU_DEP_4) | instskip(SKIP_1) | instid1(VALU_DEP_4)
	v_and_b32_e32 v57, 0xff, v5
	v_cmp_gt_u16_e64 s0, 51, v118
	v_lshrrev_b32_e32 v59, 20, v3
	s_delay_alu instid0(VALU_DEP_3) | instskip(SKIP_3) | instid1(VALU_DEP_2)
	v_lshlrev_b32_e32 v3, 4, v57
	global_load_b128 v[24:27], v3, s[2:3]
	v_and_b32_e32 v0, 0xffff, v82
	v_and_b32_e32 v6, 0xffff, v2
	v_mul_u32_u24_e32 v7, 0xf0f1, v0
	s_delay_alu instid0(VALU_DEP_2) | instskip(NEXT) | instid1(VALU_DEP_2)
	v_mul_u32_u24_e32 v6, 0xf0f1, v6
	v_lshrrev_b32_e32 v56, 20, v7
	v_mul_lo_u16 v7, v51, 17
	s_delay_alu instid0(VALU_DEP_3) | instskip(NEXT) | instid1(VALU_DEP_3)
	v_lshrrev_b32_e32 v58, 20, v6
	v_mul_lo_u16 v5, v56, 17
	s_delay_alu instid0(VALU_DEP_3) | instskip(NEXT) | instid1(VALU_DEP_3)
	v_sub_nc_u16 v6, v84, v7
	v_mul_lo_u16 v7, v58, 17
	s_delay_alu instid0(VALU_DEP_3) | instskip(NEXT) | instid1(VALU_DEP_3)
	v_sub_nc_u16 v60, v82, v5
	v_and_b32_e32 v61, 0xff, v6
	s_delay_alu instid0(VALU_DEP_3) | instskip(SKIP_1) | instid1(VALU_DEP_4)
	v_sub_nc_u16 v62, v2, v7
	v_mul_lo_u16 v5, v59, 17
	v_lshlrev_b16 v2, 1, v60
	v_mad_u16 v56, v56, 51, v60
	s_delay_alu instid0(VALU_DEP_4) | instskip(NEXT) | instid1(VALU_DEP_4)
	v_mad_u16 v58, v58, 51, v62
	v_sub_nc_u16 v63, v4, v5
	v_lshlrev_b16 v4, 1, v62
	v_and_b32_e32 v2, 0xffff, v2
	s_delay_alu instid0(VALU_DEP_3) | instskip(NEXT) | instid1(VALU_DEP_2)
	v_mad_u16 v59, v59, 51, v63
	v_lshlrev_b32_e32 v2, 3, v2
	global_load_b128 v[16:19], v2, s[2:3]
	v_lshlrev_b32_e32 v3, 4, v61
	v_and_b32_e32 v4, 0xffff, v4
	global_load_b128 v[20:23], v3, s[2:3]
	v_lshlrev_b16 v3, 1, v63
	v_lshlrev_b32_e32 v4, 3, v4
	s_delay_alu instid0(VALU_DEP_2) | instskip(NEXT) | instid1(VALU_DEP_1)
	v_and_b32_e32 v3, 0xffff, v3
	v_lshlrev_b32_e32 v2, 3, v3
	s_clause 0x1
	global_load_b128 v[12:15], v4, s[2:3]
	global_load_b128 v[8:11], v2, s[2:3]
	v_and_b32_e32 v2, 0xffff, v118
	s_delay_alu instid0(VALU_DEP_1) | instskip(NEXT) | instid1(VALU_DEP_1)
	v_lshlrev_b32_e32 v119, 3, v2
	v_add_nc_u32_e32 v28, 0x800, v119
	v_add_nc_u32_e32 v68, 0x1c00, v119
	v_add_nc_u32_e32 v32, 0x1000, v119
	v_add_nc_u32_e32 v64, 0x400, v119
	v_add_nc_u32_e32 v76, 0x2400, v119
	v_add_nc_u32_e32 v46, 0x1800, v119
	ds_load_2addr_b64 v[2:5], v119 offset1:102
	ds_load_b64 v[6:7], v119 offset:11424
	ds_load_2addr_b64 v[52:55], v28 offset0:152 offset1:254
	ds_load_2addr_b64 v[28:31], v68 offset0:124 offset1:226
	;; [unrolled: 1-line block ×6, first 2 shown]
	v_and_b32_e32 v51, 0xffff, v51
	v_and_b32_e32 v50, 0xffff, v50
	;; [unrolled: 1-line block ×3, first 2 shown]
	global_wb scope:SCOPE_SE
	s_wait_loadcnt_dscnt 0x0
	s_barrier_signal -1
	v_mul_u32_u24_e32 v51, 51, v51
	s_barrier_wait -1
	global_inv scope:SCOPE_SE
	v_add_lshl_u32 v123, v51, v61, 3
	v_mul_f32_e32 v51, v54, v25
	s_delay_alu instid0(VALU_DEP_1) | instskip(NEXT) | instid1(VALU_DEP_1)
	v_dual_fmac_f32 v51, v55, v24 :: v_dual_and_b32 v58, 0xffff, v58
	v_add_f32_e32 v73, v3, v51
	s_delay_alu instid0(VALU_DEP_2) | instskip(NEXT) | instid1(VALU_DEP_1)
	v_dual_mul_f32 v58, v30, v23 :: v_dual_lshlrev_b32 v121, 3, v58
	v_fmac_f32_e32 v58, v31, v22
	v_mul_f32_e32 v60, v43, v15
	v_mul_f32_e32 v61, v42, v15
	v_mul_u32_u24_e32 v50, 51, v50
	v_dual_mul_f32 v67, v6, v11 :: v_dual_lshlrev_b32 v122, 3, v56
	v_dual_mul_f32 v56, v29, v27 :: v_dual_mul_f32 v63, v48, v9
	s_delay_alu instid0(VALU_DEP_3) | instskip(NEXT) | instid1(VALU_DEP_3)
	v_add_lshl_u32 v124, v50, v57, 3
	v_fmac_f32_e32 v67, v7, v10
	v_dual_mul_f32 v50, v55, v25 :: v_dual_mul_f32 v57, v28, v27
	s_delay_alu instid0(VALU_DEP_4) | instskip(SKIP_1) | instid1(VALU_DEP_3)
	v_fma_f32 v28, v28, v26, -v56
	v_dual_mul_f32 v55, v32, v21 :: v_dual_mul_f32 v56, v31, v23
	v_fma_f32 v50, v54, v24, -v50
	v_mul_f32_e32 v54, v33, v21
	v_fmac_f32_e32 v57, v29, v26
	v_and_b32_e32 v59, 0xffff, v59
	v_fmac_f32_e32 v55, v33, v20
	v_mul_f32_e32 v31, v35, v17
	v_fma_f32 v29, v32, v20, -v54
	v_sub_f32_e32 v72, v51, v57
	v_lshlrev_b32_e32 v120, 3, v59
	v_dual_mul_f32 v32, v34, v17 :: v_dual_mul_f32 v33, v41, v19
	v_dual_mul_f32 v54, v40, v19 :: v_dual_mul_f32 v59, v46, v13
	v_add_f32_e32 v71, v50, v28
	v_add_f32_e32 v51, v51, v57
	v_add_nc_u32_e32 v65, 0xc00, v119
	v_dual_mul_f32 v62, v49, v9 :: v_dual_add_nc_u32 v69, 0x1400, v119
	v_fma_f32 v30, v30, v22, -v56
	v_mul_f32_e32 v56, v47, v13
	v_mul_f32_e32 v66, v7, v11
	v_add_f32_e32 v70, v2, v50
	v_sub_f32_e32 v50, v50, v28
	v_fma_f32 v34, v34, v16, -v31
	v_fmac_f32_e32 v32, v35, v16
	v_fma_f32 v35, v40, v18, -v33
	v_fmac_f32_e32 v59, v47, v12
	v_add_f32_e32 v47, v5, v55
	v_fma_f32 v2, -0.5, v71, v2
	v_fma_f32 v3, -0.5, v51, v3
	v_dual_fmac_f32 v54, v41, v18 :: v_dual_add_f32 v31, v4, v29
	v_fma_f32 v33, v46, v12, -v56
	v_fma_f32 v40, v42, v14, -v60
	v_fmac_f32_e32 v61, v43, v14
	v_fma_f32 v41, v48, v8, -v62
	v_dual_add_f32 v48, v55, v58 :: v_dual_fmac_f32 v63, v49, v8
	v_fma_f32 v42, v6, v10, -v66
	v_dual_add_f32 v43, v29, v30 :: v_dual_add_f32 v6, v70, v28
	v_dual_sub_f32 v49, v29, v30 :: v_dual_fmamk_f32 v28, v72, 0x3f5db3d7, v2
	v_dual_fmac_f32 v2, 0xbf5db3d7, v72 :: v_dual_fmamk_f32 v29, v50, 0xbf5db3d7, v3
	v_add_f32_e32 v30, v31, v30
	v_add_f32_e32 v31, v47, v58
	;; [unrolled: 1-line block ×3, first 2 shown]
	v_dual_add_f32 v51, v32, v54 :: v_dual_add_f32 v56, v38, v33
	v_dual_add_f32 v7, v73, v57 :: v_dual_sub_f32 v46, v55, v58
	v_fmac_f32_e32 v5, -0.5, v48
	v_fmac_f32_e32 v3, 0x3f5db3d7, v50
	v_dual_sub_f32 v50, v32, v54 :: v_dual_add_f32 v57, v33, v40
	v_dual_sub_f32 v58, v59, v61 :: v_dual_sub_f32 v73, v41, v42
	v_add_f32_e32 v60, v39, v59
	v_dual_add_f32 v59, v59, v61 :: v_dual_sub_f32 v62, v33, v40
	v_fma_f32 v4, -0.5, v43, v4
	v_dual_add_f32 v66, v52, v41 :: v_dual_sub_f32 v71, v63, v67
	v_add_f32_e32 v70, v41, v42
	v_add_f32_e32 v72, v53, v63
	;; [unrolled: 1-line block ×3, first 2 shown]
	v_dual_add_f32 v43, v36, v34 :: v_dual_add_f32 v48, v37, v32
	v_sub_f32_e32 v55, v34, v35
	v_fma_f32 v36, -0.5, v47, v36
	v_fma_f32 v37, -0.5, v51, v37
	v_dual_add_f32 v40, v56, v40 :: v_dual_fmac_f32 v39, -0.5, v59
	v_fma_f32 v38, -0.5, v57, v38
	v_fmamk_f32 v32, v46, 0x3f5db3d7, v4
	v_fmamk_f32 v33, v49, 0xbf5db3d7, v5
	v_fma_f32 v52, -0.5, v70, v52
	v_dual_fmac_f32 v53, -0.5, v63 :: v_dual_fmac_f32 v4, 0xbf5db3d7, v46
	v_add_f32_e32 v41, v60, v61
	v_dual_fmac_f32 v5, 0x3f5db3d7, v49 :: v_dual_add_f32 v34, v43, v35
	v_add_f32_e32 v35, v48, v54
	ds_store_2addr_b64 v124, v[6:7], v[28:29] offset1:17
	ds_store_b64 v124, v[2:3] offset:272
	v_fmamk_f32 v7, v62, 0xbf5db3d7, v39
	v_fmamk_f32 v2, v50, 0x3f5db3d7, v36
	v_dual_fmac_f32 v36, 0xbf5db3d7, v50 :: v_dual_fmamk_f32 v3, v55, 0xbf5db3d7, v37
	v_dual_fmac_f32 v37, 0x3f5db3d7, v55 :: v_dual_fmamk_f32 v6, v58, 0x3f5db3d7, v38
	v_dual_add_f32 v48, v66, v42 :: v_dual_add_f32 v49, v72, v67
	v_dual_fmac_f32 v38, 0xbf5db3d7, v58 :: v_dual_fmamk_f32 v51, v73, 0xbf5db3d7, v53
	v_dual_fmac_f32 v39, 0x3f5db3d7, v62 :: v_dual_fmamk_f32 v50, v71, 0x3f5db3d7, v52
	v_fmac_f32_e32 v52, 0xbf5db3d7, v71
	v_fmac_f32_e32 v53, 0x3f5db3d7, v73
	ds_store_2addr_b64 v123, v[30:31], v[32:33] offset1:17
	ds_store_b64 v123, v[4:5] offset:272
	ds_store_2addr_b64 v122, v[34:35], v[2:3] offset1:17
	ds_store_b64 v122, v[36:37] offset:272
	;; [unrolled: 2-line block ×4, first 2 shown]
	global_wb scope:SCOPE_SE
	s_wait_dscnt 0x0
	s_barrier_signal -1
	s_barrier_wait -1
	global_inv scope:SCOPE_SE
	ds_load_2addr_b64 v[56:59], v119 offset1:102
	ds_load_2addr_b64 v[72:75], v64 offset0:127 offset1:229
	ds_load_2addr_b64 v[64:67], v65 offset0:126 offset1:228
	;; [unrolled: 1-line block ×5, first 2 shown]
	s_and_saveexec_b32 s1, s0
	s_cbranch_execz .LBB0_9
; %bb.8:
	v_add_nc_u32_e32 v2, 0x1650, v119
	ds_load_2addr_b64 v[52:55], v2 offset1:255
	v_add_nc_u32_e32 v3, 0x660, v119
	v_add_nc_u32_e32 v2, 0x2640, v119
	s_wait_dscnt 0x0
	v_mov_b32_e32 v80, v54
	ds_load_2addr_b64 v[48:51], v3 offset1:255
	ds_load_2addr_b64 v[44:47], v2 offset1:255
	v_mov_b32_e32 v81, v55
.LBB0_9:
	s_wait_alu 0xfffe
	s_or_b32 exec_lo, exec_lo, s1
	v_subrev_nc_u32_e32 v2, 51, v118
	v_mul_lo_u16 v1, 0xa1, v1
	v_mul_u32_u24_e32 v0, 0xa0a1, v0
	s_delay_alu instid0(VALU_DEP_3) | instskip(NEXT) | instid1(VALU_DEP_3)
	v_cndmask_b32_e64 v86, v2, v118, s0
	v_lshrrev_b16 v87, 13, v1
	s_delay_alu instid0(VALU_DEP_3) | instskip(NEXT) | instid1(VALU_DEP_3)
	v_lshrrev_b32_e32 v0, 21, v0
	v_mul_i32_i24_e32 v2, 40, v86
	v_mul_hi_i32_i24_e32 v3, 40, v86
	s_delay_alu instid0(VALU_DEP_4) | instskip(NEXT) | instid1(VALU_DEP_4)
	v_mul_lo_u16 v1, v87, 51
	v_mul_lo_u16 v0, v0, 51
	s_delay_alu instid0(VALU_DEP_4)
	v_add_co_u32 v2, s1, s2, v2
	s_wait_alu 0xf1ff
	v_add_co_ci_u32_e64 v3, s1, s3, v3, s1
	v_sub_nc_u16 v1, v84, v1
	v_sub_nc_u16 v89, v82, v0
	s_clause 0x2
	global_load_b128 v[36:39], v[2:3], off offset:272
	global_load_b128 v[28:31], v[2:3], off offset:288
	global_load_b64 v[113:114], v[2:3], off offset:304
	v_and_b32_e32 v88, 0xff, v1
	v_mul_lo_u16 v2, v89, 40
	v_and_b32_e32 v125, 0xffff, v89
	s_delay_alu instid0(VALU_DEP_3) | instskip(NEXT) | instid1(VALU_DEP_3)
	v_mad_co_u64_u32 v[0:1], null, v88, 40, s[2:3]
	v_and_b32_e32 v2, 0xffff, v2
	s_clause 0x1
	global_load_b128 v[40:43], v[0:1], off offset:272
	global_load_b128 v[32:35], v[0:1], off offset:288
	v_add_co_u32 v54, s1, s2, v2
	s_wait_alu 0xf1ff
	v_add_co_ci_u32_e64 v55, null, s3, 0, s1
	s_clause 0x3
	global_load_b64 v[111:112], v[0:1], off offset:304
	global_load_b128 v[4:7], v[54:55], off offset:272
	global_load_b128 v[0:3], v[54:55], off offset:288
	global_load_b64 v[109:110], v[54:55], off offset:304
	v_cmp_lt_u16_e64 s1, 50, v118
	v_and_b32_e32 v54, 0xffff, v87
	global_wb scope:SCOPE_SE
	s_wait_loadcnt_dscnt 0x0
	s_barrier_signal -1
	s_barrier_wait -1
	s_wait_alu 0xf1ff
	v_cndmask_b32_e64 v55, 0, 0x132, s1
	global_inv scope:SCOPE_SE
	v_add_lshl_u32 v126, v86, v55, 3
	v_dual_mul_f32 v86, v65, v39 :: v_dual_mul_f32 v89, v60, v29
	v_mul_u32_u24_e32 v54, 0x132, v54
	v_mul_f32_e32 v87, v64, v39
	v_mul_f32_e32 v55, v72, v37
	s_delay_alu instid0(VALU_DEP_4)
	v_fma_f32 v64, v64, v38, -v86
	v_mul_f32_e32 v90, v69, v31
	v_add_lshl_u32 v127, v54, v88, 3
	v_dual_mul_f32 v54, v73, v37 :: v_dual_mul_f32 v91, v68, v31
	v_dual_mul_f32 v88, v61, v29 :: v_dual_mul_f32 v93, v76, v114
	v_fmac_f32_e32 v87, v65, v38
	s_delay_alu instid0(VALU_DEP_3) | instskip(NEXT) | instid1(VALU_DEP_4)
	v_fma_f32 v54, v72, v36, -v54
	v_fmac_f32_e32 v91, v69, v30
	s_delay_alu instid0(VALU_DEP_4)
	v_fma_f32 v60, v60, v28, -v88
	v_mul_f32_e32 v92, v77, v114
	v_fmac_f32_e32 v89, v61, v28
	v_fma_f32 v61, v68, v30, -v90
	v_dual_fmac_f32 v93, v77, v113 :: v_dual_mul_f32 v94, v67, v43
	v_add_f32_e32 v68, v56, v64
	v_add_f32_e32 v77, v54, v60
	v_fma_f32 v65, v76, v113, -v92
	v_add_f32_e32 v69, v64, v61
	v_dual_sub_f32 v64, v64, v61 :: v_dual_fmac_f32 v55, v73, v36
	v_sub_f32_e32 v72, v87, v91
	s_delay_alu instid0(VALU_DEP_4)
	v_dual_add_f32 v73, v57, v87 :: v_dual_add_f32 v86, v60, v65
	v_dual_add_f32 v76, v87, v91 :: v_dual_sub_f32 v87, v89, v93
	v_mul_f32_e32 v98, v71, v35
	v_dual_add_f32 v88, v55, v89 :: v_dual_mul_f32 v95, v66, v43
	v_dual_add_f32 v89, v89, v93 :: v_dual_mul_f32 v100, v79, v112
	v_dual_mul_f32 v90, v75, v41 :: v_dual_mul_f32 v101, v78, v112
	v_dual_mul_f32 v96, v63, v33 :: v_dual_mul_f32 v115, v45, v3
	;; [unrolled: 1-line block ×3, first 2 shown]
	v_dual_sub_f32 v60, v60, v65 :: v_dual_mul_f32 v99, v70, v35
	v_dual_mul_f32 v92, v74, v41 :: v_dual_mul_f32 v105, v52, v7
	v_dual_mul_f32 v102, v51, v5 :: v_dual_mul_f32 v129, v46, v110
	;; [unrolled: 1-line block ×3, first 2 shown]
	v_dual_mul_f32 v106, v81, v1 :: v_dual_fmac_f32 v95, v67, v42
	v_dual_mul_f32 v107, v80, v1 :: v_dual_mul_f32 v128, v47, v110
	v_dual_add_f32 v61, v68, v61 :: v_dual_add_f32 v68, v73, v91
	v_fma_f32 v130, -0.5, v69, v56
	v_fma_f32 v91, -0.5, v76, v57
	v_dual_add_f32 v65, v77, v65 :: v_dual_fmac_f32 v54, -0.5, v86
	v_dual_fmac_f32 v55, -0.5, v89 :: v_dual_fmac_f32 v116, v45, v2
	v_fma_f32 v66, v66, v42, -v94
	v_fma_f32 v62, v62, v32, -v96
	v_fmac_f32_e32 v97, v63, v32
	v_fma_f32 v63, v70, v34, -v98
	v_fma_f32 v67, v78, v111, -v100
	v_dual_fmac_f32 v101, v79, v111 :: v_dual_add_f32 v56, v61, v65
	v_dual_add_f32 v69, v88, v93 :: v_dual_fmac_f32 v92, v75, v40
	v_fma_f32 v86, v74, v40, -v90
	v_fmac_f32_e32 v99, v71, v34
	v_fma_f32 v70, v50, v4, -v102
	v_fmac_f32_e32 v103, v51, v4
	;; [unrolled: 2-line block ×4, first 2 shown]
	v_fma_f32 v44, v44, v2, -v115
	v_fma_f32 v45, v46, v109, -v128
	v_dual_fmac_f32 v129, v47, v109 :: v_dual_fmamk_f32 v52, v72, 0x3f5db3d7, v130
	v_fmamk_f32 v53, v64, 0xbf5db3d7, v91
	v_fmamk_f32 v46, v87, 0x3f5db3d7, v54
	v_dual_fmac_f32 v54, 0xbf5db3d7, v87 :: v_dual_fmamk_f32 v47, v60, 0xbf5db3d7, v55
	v_dual_fmac_f32 v55, 0x3f5db3d7, v60 :: v_dual_sub_f32 v74, v97, v101
	v_dual_sub_f32 v60, v61, v65 :: v_dual_add_f32 v65, v66, v63
	v_dual_add_f32 v76, v97, v101 :: v_dual_add_f32 v73, v62, v67
	v_add_f32_e32 v94, v51, v45
	v_fmac_f32_e32 v130, 0xbf5db3d7, v72
	v_fmac_f32_e32 v91, 0x3f5db3d7, v64
	v_add_f32_e32 v57, v68, v69
	v_dual_sub_f32 v61, v68, v69 :: v_dual_mul_f32 v78, -0.5, v54
	v_dual_add_f32 v64, v58, v66 :: v_dual_add_f32 v69, v59, v95
	v_dual_sub_f32 v88, v105, v116 :: v_dual_add_f32 v71, v95, v99
	v_add_f32_e32 v90, v105, v116
	v_sub_f32_e32 v66, v66, v63
	v_dual_add_f32 v72, v86, v62 :: v_dual_add_f32 v75, v92, v97
	v_mul_f32_e32 v80, -0.5, v55
	v_sub_f32_e32 v62, v62, v67
	v_dual_mul_f32 v77, 0x3f5db3d7, v47 :: v_dual_sub_f32 v98, v51, v45
	v_mul_f32_e32 v79, 0xbf5db3d7, v46
	v_dual_add_f32 v81, v48, v50 :: v_dual_add_f32 v96, v103, v107
	v_add_f32_e32 v87, v50, v44
	v_dual_add_f32 v89, v49, v105 :: v_dual_fmac_f32 v92, -0.5, v76
	v_dual_sub_f32 v93, v50, v44 :: v_dual_fmac_f32 v86, -0.5, v73
	v_dual_add_f32 v50, v70, v51 :: v_dual_add_f32 v97, v107, v129
	v_fmac_f32_e32 v80, 0xbf5db3d7, v54
	v_sub_f32_e32 v68, v95, v99
	v_dual_sub_f32 v95, v107, v129 :: v_dual_fmac_f32 v78, 0x3f5db3d7, v55
	v_dual_add_f32 v51, v64, v63 :: v_dual_add_f32 v44, v81, v44
	v_fma_f32 v58, -0.5, v65, v58
	v_dual_add_f32 v65, v69, v99 :: v_dual_fmac_f32 v70, -0.5, v94
	v_fmac_f32_e32 v59, -0.5, v71
	v_dual_add_f32 v64, v72, v67 :: v_dual_add_f32 v67, v75, v101
	v_dual_fmac_f32 v48, -0.5, v87 :: v_dual_fmac_f32 v77, 0.5, v46
	v_dual_fmac_f32 v79, 0.5, v47 :: v_dual_add_f32 v46, v89, v116
	v_add_f32_e32 v45, v50, v45
	v_fmac_f32_e32 v103, -0.5, v97
	v_fmamk_f32 v89, v62, 0xbf5db3d7, v92
	v_fmac_f32_e32 v92, 0x3f5db3d7, v62
	v_fmamk_f32 v87, v74, 0x3f5db3d7, v86
	v_fmac_f32_e32 v86, 0xbf5db3d7, v74
	v_dual_sub_f32 v74, v44, v45 :: v_dual_fmac_f32 v49, -0.5, v90
	v_dual_add_f32 v62, v51, v64 :: v_dual_fmamk_f32 v71, v68, 0x3f5db3d7, v58
	v_sub_f32_e32 v76, v130, v78
	v_dual_fmac_f32 v58, 0xbf5db3d7, v68 :: v_dual_fmamk_f32 v81, v66, 0xbf5db3d7, v59
	v_dual_fmac_f32 v59, 0x3f5db3d7, v66 :: v_dual_sub_f32 v72, v52, v77
	v_dual_add_f32 v63, v65, v67 :: v_dual_fmamk_f32 v50, v88, 0x3f5db3d7, v48
	v_dual_sub_f32 v65, v65, v67 :: v_dual_fmac_f32 v48, 0xbf5db3d7, v88
	v_add_f32_e32 v66, v52, v77
	v_dual_add_f32 v68, v130, v78 :: v_dual_add_f32 v67, v53, v79
	v_fmamk_f32 v78, v95, 0x3f5db3d7, v70
	v_dual_add_f32 v69, v91, v80 :: v_dual_fmac_f32 v70, 0xbf5db3d7, v95
	v_dual_sub_f32 v77, v91, v80 :: v_dual_mul_f32 v90, 0xbf5db3d7, v87
	v_dual_mul_f32 v88, -0.5, v86 :: v_dual_sub_f32 v73, v53, v79
	v_mul_f32_e32 v80, 0x3f5db3d7, v89
	v_fmamk_f32 v79, v98, 0xbf5db3d7, v103
	s_delay_alu instid0(VALU_DEP_3) | instskip(SKIP_4) | instid1(VALU_DEP_3)
	v_dual_fmac_f32 v103, 0x3f5db3d7, v98 :: v_dual_fmac_f32 v88, 0x3f5db3d7, v92
	v_dual_add_f32 v47, v96, v129 :: v_dual_sub_f32 v64, v51, v64
	v_dual_fmamk_f32 v51, v93, 0xbf5db3d7, v49 :: v_dual_mul_f32 v54, 0xbf5db3d7, v78
	v_dual_fmac_f32 v80, 0.5, v87 :: v_dual_fmac_f32 v49, 0x3f5db3d7, v93
	v_dual_mul_f32 v52, 0x3f5db3d7, v79 :: v_dual_mul_f32 v53, -0.5, v70
	v_fmac_f32_e32 v54, 0.5, v79
	v_mul_f32_e32 v55, -0.5, v103
	s_delay_alu instid0(VALU_DEP_3)
	v_dual_mul_f32 v91, -0.5, v92 :: v_dual_fmac_f32 v52, 0.5, v78
	v_dual_sub_f32 v75, v46, v47 :: v_dual_fmac_f32 v90, 0.5, v89
	ds_store_2addr_b64 v126, v[56:57], v[66:67] offset1:51
	ds_store_2addr_b64 v126, v[68:69], v[60:61] offset0:102 offset1:153
	v_dual_fmac_f32 v53, 0x3f5db3d7, v103 :: v_dual_sub_f32 v66, v71, v80
	v_dual_add_f32 v56, v71, v80 :: v_dual_fmac_f32 v55, 0xbf5db3d7, v70
	v_dual_fmac_f32 v91, 0xbf5db3d7, v86 :: v_dual_add_f32 v60, v58, v88
	s_delay_alu instid0(VALU_DEP_3)
	v_dual_add_f32 v57, v81, v90 :: v_dual_sub_f32 v70, v48, v53
	v_sub_f32_e32 v58, v58, v88
	v_dual_sub_f32 v115, v50, v52 :: v_dual_sub_f32 v116, v51, v54
	v_sub_f32_e32 v71, v49, v55
	v_add_f32_e32 v61, v59, v91
	v_sub_f32_e32 v67, v81, v90
	v_sub_f32_e32 v59, v59, v91
	ds_store_2addr_b64 v126, v[72:73], v[76:77] offset0:204 offset1:255
	ds_store_2addr_b64 v127, v[62:63], v[56:57] offset1:51
	ds_store_2addr_b64 v127, v[60:61], v[64:65] offset0:102 offset1:153
	ds_store_2addr_b64 v127, v[66:67], v[58:59] offset0:204 offset1:255
	s_and_saveexec_b32 s1, s0
	s_cbranch_execz .LBB0_11
; %bb.10:
	v_add_f32_e32 v49, v49, v55
	v_dual_add_f32 v51, v51, v54 :: v_dual_add_f32 v46, v46, v47
	v_lshlrev_b32_e32 v54, 3, v125
	v_dual_add_f32 v50, v50, v52 :: v_dual_add_f32 v45, v44, v45
	s_delay_alu instid0(VALU_DEP_2)
	v_dual_add_f32 v48, v48, v53 :: v_dual_add_nc_u32 v47, 0x2800, v54
	v_add_nc_u32_e32 v44, 0x2000, v54
	ds_store_2addr_b64 v44, v[45:46], v[50:51] offset0:200 offset1:251
	ds_store_2addr_b64 v47, v[48:49], v[74:75] offset0:46 offset1:97
	;; [unrolled: 1-line block ×3, first 2 shown]
.LBB0_11:
	s_wait_alu 0xfffe
	s_or_b32 exec_lo, exec_lo, s1
	v_lshlrev_b32_e32 v46, 5, v118
	global_wb scope:SCOPE_SE
	s_wait_dscnt 0x0
	s_barrier_signal -1
	s_barrier_wait -1
	global_inv scope:SCOPE_SE
	s_clause 0x1
	global_load_b128 v[48:51], v46, s[2:3] offset:2312
	global_load_b128 v[52:55], v46, s[2:3] offset:2328
	v_lshlrev_b64_e32 v[44:45], 5, v[84:85]
	v_lshlrev_b64_e32 v[46:47], 5, v[82:83]
	v_add_nc_u32_e32 v128, 0x400, v119
	v_add_nc_u32_e32 v131, 0x2400, v119
	s_delay_alu instid0(VALU_DEP_4)
	v_add_co_u32 v44, s1, s2, v44
	s_wait_alu 0xf1ff
	v_add_co_ci_u32_e64 v45, s1, s3, v45, s1
	v_add_co_u32 v46, s1, s2, v46
	s_wait_alu 0xf1ff
	v_add_co_ci_u32_e64 v47, s1, s3, v47, s1
	s_clause 0x3
	global_load_b128 v[64:67], v[44:45], off offset:2312
	global_load_b128 v[56:59], v[44:45], off offset:2328
	;; [unrolled: 1-line block ×4, first 2 shown]
	ds_load_2addr_b64 v[80:83], v128 offset0:76 offset1:178
	v_add_nc_u32_e32 v129, 0x1000, v119
	v_add_nc_u32_e32 v133, 0x1c00, v119
	s_wait_loadcnt_dscnt 0x500
	v_dual_mul_f32 v73, v82, v49 :: v_dual_add_nc_u32 v130, 0x1800, v119
	v_mul_f32_e32 v72, v83, v49
	s_delay_alu instid0(VALU_DEP_2)
	v_fmac_f32_e32 v73, v83, v48
	ds_load_2addr_b64 v[76:79], v129 offset0:100 offset1:202
	ds_load_2addr_b64 v[88:91], v130 offset0:48 offset1:150
	ds_load_2addr_b64 v[92:95], v131 offset0:72 offset1:174
	v_fma_f32 v72, v82, v48, -v72
	s_wait_dscnt 0x2
	v_mul_f32_e32 v105, v76, v51
	v_add_nc_u32_e32 v132, 0x800, v119
	s_wait_loadcnt_dscnt 0x401
	v_mul_f32_e32 v106, v91, v53
	v_dual_mul_f32 v107, v90, v53 :: v_dual_mul_f32 v104, v77, v51
	v_fmac_f32_e32 v105, v77, v50
	ds_load_2addr_b64 v[96:99], v132 offset0:152 offset1:254
	ds_load_2addr_b64 v[84:87], v119 offset1:102
	ds_load_b64 v[68:69], v119 offset:11424
	ds_load_2addr_b64 v[100:103], v133 offset0:124 offset1:226
	s_wait_dscnt 0x4
	v_mul_f32_e32 v134, v93, v55
	v_mul_f32_e32 v135, v92, v55
	v_fma_f32 v77, v90, v52, -v106
	v_fmac_f32_e32 v107, v91, v52
	v_fma_f32 v76, v76, v50, -v104
	s_wait_loadcnt 0x3
	v_mul_f32_e32 v83, v79, v67
	s_wait_loadcnt 0x2
	v_mul_f32_e32 v91, v95, v59
	v_mul_f32_e32 v136, v94, v59
	s_wait_loadcnt 0x1
	v_mul_f32_e32 v139, v88, v63
	v_add_f32_e32 v145, v76, v77
	v_dual_sub_f32 v147, v105, v107 :: v_dual_sub_f32 v148, v72, v76
	v_dual_sub_f32 v151, v76, v72 :: v_dual_add_f32 v154, v105, v107
	v_mul_f32_e32 v104, v78, v67
	v_mul_f32_e32 v138, v89, v63
	s_wait_dscnt 0x3
	v_mul_f32_e32 v82, v97, v65
	v_dual_mul_f32 v106, v99, v61 :: v_dual_fmac_f32 v135, v93, v54
	v_mul_f32_e32 v93, v96, v65
	v_fma_f32 v92, v92, v54, -v134
	s_wait_dscnt 0x0
	v_mul_f32_e32 v90, v101, v57
	v_mul_f32_e32 v134, v100, v57
	;; [unrolled: 1-line block ×3, first 2 shown]
	s_wait_loadcnt 0x0
	v_mul_f32_e32 v140, v103, v45
	v_dual_mul_f32 v141, v102, v45 :: v_dual_mul_f32 v142, v69, v47
	v_dual_mul_f32 v143, v68, v47 :: v_dual_sub_f32 v152, v77, v92
	v_add_f32_e32 v144, v84, v72
	v_dual_sub_f32 v146, v73, v135 :: v_dual_sub_f32 v149, v92, v77
	v_dual_add_f32 v150, v72, v92 :: v_dual_add_f32 v153, v85, v73
	v_dual_sub_f32 v155, v72, v92 :: v_dual_sub_f32 v72, v73, v105
	v_dual_sub_f32 v156, v76, v77 :: v_dual_sub_f32 v157, v135, v107
	v_dual_add_f32 v158, v73, v135 :: v_dual_fmac_f32 v137, v99, v60
	v_dual_sub_f32 v73, v105, v73 :: v_dual_fmac_f32 v104, v79, v66
	v_dual_sub_f32 v159, v107, v135 :: v_dual_fmac_f32 v134, v101, v56
	v_fma_f32 v96, v96, v64, -v82
	v_dual_fmac_f32 v93, v97, v64 :: v_dual_fmac_f32 v136, v95, v58
	v_fma_f32 v97, v78, v66, -v83
	v_fma_f32 v100, v100, v56, -v90
	;; [unrolled: 1-line block ×5, first 2 shown]
	v_dual_fmac_f32 v139, v89, v62 :: v_dual_add_f32 v138, v148, v149
	v_fma_f32 v101, v102, v44, -v140
	v_fmac_f32_e32 v141, v103, v44
	v_fma_f32 v68, v68, v46, -v142
	v_fmac_f32_e32 v143, v69, v46
	v_fma_f32 v82, -0.5, v145, v84
	v_fma_f32 v90, -0.5, v150, v84
	v_add_f32_e32 v84, v151, v152
	v_dual_add_f32 v69, v144, v76 :: v_dual_add_f32 v76, v153, v105
	v_fma_f32 v83, -0.5, v154, v85
	v_add_f32_e32 v140, v72, v157
	v_fma_f32 v91, -0.5, v158, v85
	v_dual_add_f32 v85, v73, v159 :: v_dual_add_f32 v72, v86, v96
	v_sub_f32_e32 v99, v96, v97
	v_dual_add_f32 v73, v97, v100 :: v_dual_sub_f32 v144, v104, v134
	v_dual_sub_f32 v142, v93, v136 :: v_dual_add_f32 v103, v96, v94
	v_dual_sub_f32 v102, v94, v100 :: v_dual_add_f32 v145, v87, v93
	v_dual_sub_f32 v105, v97, v96 :: v_dual_sub_f32 v106, v100, v94
	v_dual_add_f32 v148, v104, v134 :: v_dual_sub_f32 v149, v97, v100
	v_dual_sub_f32 v96, v96, v94 :: v_dual_sub_f32 v153, v134, v136
	v_dual_sub_f32 v150, v93, v104 :: v_dual_sub_f32 v151, v136, v134
	v_dual_add_f32 v152, v93, v136 :: v_dual_sub_f32 v93, v104, v93
	v_dual_add_f32 v154, v80, v78 :: v_dual_add_f32 v157, v95, v101
	v_dual_sub_f32 v161, v68, v101 :: v_dual_add_f32 v162, v78, v68
	v_add_f32_e32 v165, v81, v137
	v_dual_add_f32 v166, v139, v141 :: v_dual_sub_f32 v167, v78, v68
	v_dual_sub_f32 v170, v143, v141 :: v_dual_add_f32 v171, v137, v143
	v_dual_sub_f32 v158, v137, v143 :: v_dual_sub_f32 v159, v139, v141
	v_dual_sub_f32 v160, v78, v95 :: v_dual_sub_f32 v163, v95, v78
	v_sub_f32_e32 v164, v101, v68
	v_dual_sub_f32 v168, v95, v101 :: v_dual_sub_f32 v169, v137, v139
	v_dual_sub_f32 v137, v139, v137 :: v_dual_sub_f32 v172, v141, v143
	v_dual_add_f32 v69, v69, v77 :: v_dual_fmamk_f32 v78, v146, 0x3f737871, v82
	v_fmac_f32_e32 v82, 0xbf737871, v146
	v_dual_fmamk_f32 v88, v147, 0xbf737871, v90 :: v_dual_add_f32 v77, v76, v107
	v_dual_fmac_f32 v90, 0x3f737871, v147 :: v_dual_fmamk_f32 v89, v156, 0x3f737871, v91
	v_dual_fmamk_f32 v79, v155, 0xbf737871, v83 :: v_dual_add_f32 v174, v105, v106
	v_fmac_f32_e32 v83, 0x3f737871, v155
	v_fmac_f32_e32 v91, 0xbf737871, v156
	v_add_f32_e32 v97, v72, v97
	v_fma_f32 v98, -0.5, v73, v86
	v_dual_add_f32 v173, v99, v102 :: v_dual_add_f32 v76, v69, v92
	v_fma_f32 v86, -0.5, v103, v86
	v_add_f32_e32 v102, v145, v104
	v_fma_f32 v99, -0.5, v148, v87
	v_dual_fmac_f32 v87, -0.5, v152 :: v_dual_fmac_f32 v78, 0x3f167918, v147
	v_dual_add_f32 v148, v93, v153 :: v_dual_add_f32 v93, v154, v95
	v_fmac_f32_e32 v90, 0xbf167918, v146
	v_fma_f32 v72, -0.5, v157, v80
	v_fma_f32 v80, -0.5, v162, v80
	v_dual_add_f32 v103, v165, v139 :: v_dual_fmamk_f32 v104, v142, 0x3f737871, v98
	v_fma_f32 v73, -0.5, v166, v81
	v_dual_fmac_f32 v81, -0.5, v171 :: v_dual_fmac_f32 v98, 0xbf737871, v142
	v_dual_add_f32 v145, v150, v151 :: v_dual_fmac_f32 v88, 0x3f167918, v146
	v_dual_add_f32 v150, v163, v164 :: v_dual_add_f32 v139, v169, v170
	v_dual_fmamk_f32 v106, v144, 0xbf737871, v86 :: v_dual_add_f32 v137, v137, v172
	v_dual_add_f32 v77, v77, v135 :: v_dual_fmac_f32 v86, 0x3f737871, v144
	v_fmac_f32_e32 v79, 0xbf167918, v156
	v_add_f32_e32 v69, v97, v100
	v_dual_add_f32 v97, v102, v134 :: v_dual_fmamk_f32 v92, v159, 0xbf737871, v80
	v_fmamk_f32 v105, v96, 0xbf737871, v99
	v_dual_fmac_f32 v99, 0x3f737871, v96 :: v_dual_fmac_f32 v80, 0x3f737871, v159
	v_add_f32_e32 v100, v93, v101
	v_fmamk_f32 v107, v149, 0x3f737871, v87
	v_fmac_f32_e32 v87, 0xbf737871, v149
	v_fmamk_f32 v102, v158, 0x3f737871, v72
	v_fmac_f32_e32 v72, 0xbf737871, v158
	v_dual_add_f32 v100, v100, v68 :: v_dual_add_f32 v101, v103, v141
	v_fmac_f32_e32 v78, 0x3e9e377a, v138
	v_fmamk_f32 v103, v167, 0xbf737871, v73
	v_fmac_f32_e32 v73, 0x3f737871, v167
	v_fmamk_f32 v93, v168, 0x3f737871, v81
	v_fmac_f32_e32 v81, 0xbf737871, v168
	v_dual_add_f32 v95, v160, v161 :: v_dual_fmac_f32 v82, 0xbf167918, v147
	v_fmac_f32_e32 v83, 0x3f167918, v156
	v_dual_fmac_f32 v89, 0xbf167918, v155 :: v_dual_fmac_f32 v98, 0xbf167918, v144
	v_dual_fmac_f32 v91, 0x3f167918, v155 :: v_dual_fmac_f32 v104, 0x3f167918, v144
	v_fmac_f32_e32 v106, 0x3f167918, v142
	v_dual_fmac_f32 v86, 0xbf167918, v142 :: v_dual_fmac_f32 v105, 0xbf167918, v149
	v_dual_fmac_f32 v99, 0x3f167918, v149 :: v_dual_fmac_f32 v102, 0x3f167918, v159
	;; [unrolled: 1-line block ×4, first 2 shown]
	v_dual_fmac_f32 v80, 0xbf167918, v158 :: v_dual_add_f32 v101, v101, v143
	v_fmac_f32_e32 v103, 0xbf167918, v168
	v_fmac_f32_e32 v73, 0x3f167918, v168
	;; [unrolled: 1-line block ×4, first 2 shown]
	v_dual_fmac_f32 v82, 0x3e9e377a, v138 :: v_dual_fmac_f32 v79, 0x3e9e377a, v140
	v_dual_fmac_f32 v88, 0x3e9e377a, v84 :: v_dual_fmac_f32 v89, 0x3e9e377a, v85
	v_dual_fmac_f32 v90, 0x3e9e377a, v84 :: v_dual_fmac_f32 v91, 0x3e9e377a, v85
	v_dual_add_f32 v84, v69, v94 :: v_dual_fmac_f32 v83, 0x3e9e377a, v140
	v_dual_fmac_f32 v104, 0x3e9e377a, v173 :: v_dual_add_f32 v85, v97, v136
	v_dual_fmac_f32 v98, 0x3e9e377a, v173 :: v_dual_fmac_f32 v107, 0x3e9e377a, v148
	v_dual_fmac_f32 v106, 0x3e9e377a, v174 :: v_dual_fmac_f32 v105, 0x3e9e377a, v145
	;; [unrolled: 1-line block ×7, first 2 shown]
	v_fmac_f32_e32 v81, 0x3e9e377a, v137
	ds_store_2addr_b64 v119, v[76:77], v[84:85] offset1:102
	ds_store_2addr_b64 v128, v[100:101], v[78:79] offset0:76 offset1:178
	ds_store_2addr_b64 v129, v[88:89], v[106:107] offset0:100 offset1:202
	ds_store_2addr_b64 v131, v[82:83], v[98:99] offset0:72 offset1:174
	ds_store_2addr_b64 v132, v[104:105], v[102:103] offset0:152 offset1:254
	ds_store_2addr_b64 v130, v[92:93], v[90:91] offset0:48 offset1:150
	ds_store_2addr_b64 v133, v[86:87], v[80:81] offset0:124 offset1:226
	ds_store_b64 v119, v[72:73] offset:11424
	global_wb scope:SCOPE_SE
	s_wait_dscnt 0x0
	s_barrier_signal -1
	s_barrier_wait -1
	global_inv scope:SCOPE_SE
	s_and_saveexec_b32 s1, vcc_lo
	s_cbranch_execz .LBB0_13
; %bb.12:
	global_load_b64 v[68:69], v117, s[8:9] offset:12240
	s_add_nc_u64 s[2:3], s[8:9], 0x2fd0
	s_clause 0xf
	global_load_b64 v[156:157], v117, s[2:3] offset:720
	global_load_b64 v[158:159], v117, s[2:3] offset:1440
	;; [unrolled: 1-line block ×16, first 2 shown]
	ds_load_b64 v[94:95], v119
	v_add_nc_u32_e32 v189, 0xc00, v117
	v_add_nc_u32_e32 v191, 0x1800, v117
	;; [unrolled: 1-line block ×4, first 2 shown]
	s_wait_loadcnt_dscnt 0x1000
	v_mul_f32_e32 v96, v95, v69
	v_mul_f32_e32 v97, v94, v69
	s_delay_alu instid0(VALU_DEP_2) | instskip(NEXT) | instid1(VALU_DEP_2)
	v_fma_f32 v96, v94, v68, -v96
	v_fmac_f32_e32 v97, v95, v68
	ds_store_b64 v119, v[96:97]
	ds_load_2addr_b64 v[94:97], v117 offset0:90 offset1:180
	ds_load_2addr_b64 v[128:131], v188 offset0:14 offset1:104
	v_add_nc_u32_e32 v190, 0x1000, v117
	v_add_nc_u32_e32 v192, 0x1c00, v117
	ds_load_2addr_b64 v[132:135], v189 offset0:66 offset1:156
	v_add_nc_u32_e32 v194, 0x2800, v117
	s_wait_loadcnt_dscnt 0xf02
	v_mul_f32_e32 v68, v95, v157
	v_mul_f32_e32 v69, v94, v157
	s_wait_loadcnt 0xe
	v_mul_f32_e32 v157, v96, v159
	ds_load_2addr_b64 v[136:139], v190 offset0:118 offset1:208
	v_mul_f32_e32 v195, v97, v159
	s_wait_loadcnt_dscnt 0xa01
	v_dual_mul_f32 v196, v129, v161 :: v_dual_mul_f32 v199, v135, v167
	v_mul_f32_e32 v159, v128, v161
	v_mul_f32_e32 v197, v131, v163
	;; [unrolled: 1-line block ×3, first 2 shown]
	ds_load_2addr_b64 v[140:143], v191 offset0:42 offset1:132
	ds_load_2addr_b64 v[144:147], v192 offset0:94 offset1:184
	;; [unrolled: 1-line block ×4, first 2 shown]
	v_mul_f32_e32 v198, v133, v165
	v_mul_f32_e32 v163, v132, v165
	;; [unrolled: 1-line block ×3, first 2 shown]
	v_fma_f32 v68, v94, v156, -v68
	v_fmac_f32_e32 v69, v95, v156
	v_fma_f32 v156, v96, v158, -v195
	v_fmac_f32_e32 v157, v97, v158
	;; [unrolled: 2-line block ×4, first 2 shown]
	v_fmac_f32_e32 v163, v133, v164
	s_wait_loadcnt_dscnt 0x804
	v_dual_mul_f32 v201, v139, v171 :: v_dual_mul_f32 v200, v137, v169
	v_mul_f32_e32 v167, v136, v169
	s_wait_loadcnt_dscnt 0x703
	v_dual_mul_f32 v169, v138, v171 :: v_dual_mul_f32 v202, v141, v173
	s_wait_loadcnt 0x6
	v_mul_f32_e32 v203, v143, v175
	v_mul_f32_e32 v171, v140, v173
	s_wait_loadcnt_dscnt 0x502
	v_dual_mul_f32 v173, v142, v175 :: v_dual_mul_f32 v204, v145, v177
	v_mul_f32_e32 v175, v144, v177
	s_wait_loadcnt_dscnt 0x301
	v_dual_mul_f32 v205, v147, v179 :: v_dual_mul_f32 v206, v149, v181
	s_wait_loadcnt_dscnt 0x100
	v_dual_mul_f32 v177, v146, v179 :: v_dual_mul_f32 v208, v153, v185
	v_mul_f32_e32 v179, v148, v181
	v_mul_f32_e32 v207, v151, v183
	;; [unrolled: 1-line block ×4, first 2 shown]
	s_wait_loadcnt 0x0
	v_mul_f32_e32 v209, v155, v187
	v_mul_f32_e32 v185, v154, v187
	v_fma_f32 v162, v132, v164, -v198
	v_fma_f32 v164, v134, v166, -v199
	v_fmac_f32_e32 v165, v135, v166
	v_fma_f32 v166, v136, v168, -v200
	v_fmac_f32_e32 v167, v137, v168
	;; [unrolled: 2-line block ×11, first 2 shown]
	ds_store_2addr_b64 v117, v[68:69], v[156:157] offset0:90 offset1:180
	ds_store_2addr_b64 v188, v[158:159], v[160:161] offset0:14 offset1:104
	;; [unrolled: 1-line block ×8, first 2 shown]
.LBB0_13:
	s_wait_alu 0xfffe
	s_or_b32 exec_lo, exec_lo, s1
	global_wb scope:SCOPE_SE
	s_wait_dscnt 0x0
	s_barrier_signal -1
	s_barrier_wait -1
	global_inv scope:SCOPE_SE
	s_and_saveexec_b32 s1, vcc_lo
	s_cbranch_execz .LBB0_15
; %bb.14:
	v_add_nc_u32_e32 v69, 0x2000, v119
	v_add_nc_u32_e32 v73, 0x1400, v119
	ds_load_2addr_b64 v[76:79], v119 offset1:90
	ds_load_2addr_b64 v[92:95], v69 offset0:56 offset1:146
	ds_load_2addr_b64 v[96:99], v73 offset0:80 offset1:170
	v_add_nc_u32_e32 v68, 0x400, v119
	v_add_nc_u32_e32 v72, 0x800, v119
	;; [unrolled: 1-line block ×4, first 2 shown]
	s_wait_dscnt 0x1
	v_mov_b32_e32 v81, v95
	s_wait_dscnt 0x0
	v_mov_b32_e32 v87, v97
	ds_load_2addr_b64 v[88:91], v68 offset0:52 offset1:142
	v_add_nc_u32_e32 v68, 0x1000, v119
	ds_load_2addr_b64 v[82:85], v72 offset0:104 offset1:194
	ds_load_2addr_b64 v[104:107], v68 offset0:28 offset1:118
	;; [unrolled: 1-line block ×3, first 2 shown]
	ds_load_b64 v[115:116], v119 offset:11520
	ds_load_2addr_b64 v[72:75], v73 offset0:108 offset1:198
	v_mov_b32_e32 v80, v94
	v_mov_b32_e32 v86, v96
.LBB0_15:
	s_wait_alu 0xfffe
	s_or_b32 exec_lo, exec_lo, s1
	s_wait_dscnt 0x1
	v_dual_sub_f32 v174, v79, v116 :: v_dual_add_f32 v185, v116, v79
	v_dual_add_f32 v170, v115, v78 :: v_dual_sub_f32 v175, v78, v115
	s_wait_dscnt 0x0
	v_dual_sub_f32 v97, v88, v74 :: v_dual_sub_f32 v146, v91, v73
	s_delay_alu instid0(VALU_DEP_3) | instskip(SKIP_2) | instid1(VALU_DEP_3)
	v_dual_mul_f32 v186, 0xbeb8f4ab, v174 :: v_dual_add_f32 v143, v75, v89
	v_dual_mul_f32 v187, 0x3f6eb680, v185 :: v_dual_add_f32 v96, v74, v88
	v_sub_f32_e32 v142, v89, v75
	v_fma_f32 v68, 0x3f6eb680, v170, -v186
	v_mul_f32_e32 v189, 0x3f3d2fb0, v185
	s_delay_alu instid0(VALU_DEP_4)
	v_fmamk_f32 v69, v175, 0xbeb8f4ab, v187
	v_mul_f32_e32 v188, 0xbf2c7751, v174
	v_dual_mul_f32 v171, 0xbf65296c, v146 :: v_dual_add_f32 v148, v73, v91
	v_add_f32_e32 v68, v76, v68
	v_dual_mul_f32 v168, 0xbf2c7751, v142 :: v_dual_fmamk_f32 v95, v175, 0xbf2c7751, v189
	v_add_f32_e32 v69, v77, v69
	v_fma_f32 v94, 0x3f3d2fb0, v170, -v188
	v_mul_f32_e32 v169, 0x3f3d2fb0, v143
	s_delay_alu instid0(VALU_DEP_4) | instskip(SKIP_1) | instid1(VALU_DEP_3)
	v_fma_f32 v128, 0x3f3d2fb0, v96, -v168
	v_dual_add_f32 v95, v77, v95 :: v_dual_sub_f32 v150, v83, v81
	v_dual_add_f32 v94, v76, v94 :: v_dual_fmamk_f32 v129, v97, 0xbf2c7751, v169
	s_delay_alu instid0(VALU_DEP_3) | instskip(SKIP_4) | instid1(VALU_DEP_4)
	v_add_f32_e32 v68, v128, v68
	v_add_f32_e32 v128, v72, v90
	v_mul_f32_e32 v140, 0xbf7ee86f, v142
	v_dual_mul_f32 v145, 0xbf1a4643, v148 :: v_dual_add_f32 v152, v81, v83
	v_add_f32_e32 v69, v129, v69
	v_fma_f32 v132, 0x3ee437d1, v128, -v171
	s_delay_alu instid0(VALU_DEP_4) | instskip(SKIP_2) | instid1(VALU_DEP_4)
	v_fma_f32 v130, 0x3dbcf732, v96, -v140
	v_mul_f32_e32 v141, 0x3dbcf732, v143
	v_sub_f32_e32 v129, v90, v72
	v_dual_mul_f32 v147, 0xbe3c28d5, v150 :: v_dual_add_f32 v68, v132, v68
	s_delay_alu instid0(VALU_DEP_3) | instskip(SKIP_3) | instid1(VALU_DEP_4)
	v_dual_add_f32 v94, v130, v94 :: v_dual_fmamk_f32 v131, v97, 0xbf7ee86f, v141
	v_mul_f32_e32 v172, 0x3ee437d1, v148
	v_add_f32_e32 v130, v80, v82
	v_dual_mul_f32 v173, 0xbf7ee86f, v150 :: v_dual_add_f32 v156, v93, v85
	v_add_f32_e32 v95, v131, v95
	s_delay_alu instid0(VALU_DEP_4) | instskip(SKIP_1) | instid1(VALU_DEP_4)
	v_fmamk_f32 v131, v129, 0xbf65296c, v172
	v_mul_f32_e32 v144, 0xbf4c4adb, v146
	v_fma_f32 v134, 0x3dbcf732, v130, -v173
	v_dual_sub_f32 v159, v105, v103 :: v_dual_add_f32 v160, v103, v105
	s_delay_alu instid0(VALU_DEP_4) | instskip(NEXT) | instid1(VALU_DEP_4)
	v_add_f32_e32 v69, v131, v69
	v_fma_f32 v132, 0xbf1a4643, v128, -v144
	v_fmamk_f32 v133, v129, 0xbf4c4adb, v145
	v_sub_f32_e32 v131, v82, v80
	v_add_f32_e32 v68, v134, v68
	v_mul_f32_e32 v154, 0xbf59a7d5, v156
	v_add_f32_e32 v94, v132, v94
	v_dual_mul_f32 v176, 0x3dbcf732, v152 :: v_dual_add_f32 v95, v133, v95
	v_add_f32_e32 v132, v92, v84
	v_fma_f32 v135, 0xbf7ba420, v130, -v147
	v_mul_f32_e32 v149, 0xbf7ba420, v152
	s_delay_alu instid0(VALU_DEP_4)
	v_dual_sub_f32 v155, v85, v93 :: v_dual_fmamk_f32 v134, v131, 0xbf7ee86f, v176
	v_sub_f32_e32 v133, v84, v92
	v_mul_f32_e32 v178, 0xbe8c1d8e, v156
	v_add_f32_e32 v94, v135, v94
	v_fmamk_f32 v136, v131, 0xbe3c28d5, v149
	v_mul_f32_e32 v177, 0xbf763a35, v155
	v_add_f32_e32 v69, v134, v69
	v_dual_mul_f32 v151, 0x3f06c442, v155 :: v_dual_add_f32 v134, v102, v104
	s_delay_alu instid0(VALU_DEP_4) | instskip(NEXT) | instid1(VALU_DEP_4)
	v_dual_add_f32 v95, v136, v95 :: v_dual_fmamk_f32 v136, v133, 0xbf763a35, v178
	v_fma_f32 v137, 0xbe8c1d8e, v132, -v177
	v_dual_sub_f32 v135, v104, v102 :: v_dual_mul_f32 v180, 0xbf1a4643, v160
	v_mul_f32_e32 v153, 0x3f763a35, v159
	s_delay_alu instid0(VALU_DEP_4) | instskip(NEXT) | instid1(VALU_DEP_4)
	v_add_f32_e32 v69, v136, v69
	v_dual_mul_f32 v179, 0xbf4c4adb, v159 :: v_dual_add_f32 v68, v137, v68
	s_delay_alu instid0(VALU_DEP_4) | instskip(SKIP_2) | instid1(VALU_DEP_4)
	v_fmamk_f32 v136, v135, 0xbf4c4adb, v180
	v_fma_f32 v137, 0xbf59a7d5, v132, -v151
	v_fmamk_f32 v138, v133, 0x3f06c442, v154
	v_fma_f32 v139, 0xbf1a4643, v134, -v179
	v_dual_sub_f32 v164, v107, v101 :: v_dual_add_f32 v165, v101, v107
	s_delay_alu instid0(VALU_DEP_4) | instskip(NEXT) | instid1(VALU_DEP_3)
	v_dual_add_f32 v69, v136, v69 :: v_dual_add_f32 v94, v137, v94
	v_dual_add_f32 v95, v138, v95 :: v_dual_add_f32 v68, v139, v68
	v_fma_f32 v138, 0xbe8c1d8e, v134, -v153
	s_delay_alu instid0(VALU_DEP_4) | instskip(SKIP_2) | instid1(VALU_DEP_4)
	v_dual_add_f32 v136, v100, v106 :: v_dual_mul_f32 v181, 0xbf06c442, v164
	v_dual_sub_f32 v137, v106, v100 :: v_dual_mul_f32 v182, 0xbf59a7d5, v165
	v_mul_f32_e32 v158, 0xbe8c1d8e, v160
	v_dual_mul_f32 v157, 0x3f65296c, v164 :: v_dual_add_f32 v94, v138, v94
	s_delay_alu instid0(VALU_DEP_4) | instskip(NEXT) | instid1(VALU_DEP_4)
	v_fma_f32 v161, 0xbf59a7d5, v136, -v181
	v_dual_fmamk_f32 v138, v137, 0xbf06c442, v182 :: v_dual_add_f32 v167, v99, v87
	s_delay_alu instid0(VALU_DEP_4) | instskip(NEXT) | instid1(VALU_DEP_4)
	v_fmamk_f32 v139, v135, 0x3f763a35, v158
	v_fma_f32 v162, 0x3ee437d1, v136, -v157
	s_delay_alu instid0(VALU_DEP_4) | instskip(NEXT) | instid1(VALU_DEP_4)
	v_dual_add_f32 v68, v161, v68 :: v_dual_mul_f32 v161, 0x3ee437d1, v165
	v_dual_add_f32 v69, v138, v69 :: v_dual_sub_f32 v166, v87, v99
	s_delay_alu instid0(VALU_DEP_3) | instskip(NEXT) | instid1(VALU_DEP_3)
	v_dual_add_f32 v95, v139, v95 :: v_dual_add_f32 v94, v162, v94
	v_dual_fmamk_f32 v190, v137, 0x3f65296c, v161 :: v_dual_sub_f32 v139, v86, v98
	v_dual_add_f32 v138, v98, v86 :: v_dual_mul_f32 v163, 0x3f6eb680, v167
	s_delay_alu instid0(VALU_DEP_4) | instskip(SKIP_1) | instid1(VALU_DEP_4)
	v_mul_f32_e32 v183, 0xbe3c28d5, v166
	v_mul_f32_e32 v184, 0xbf7ba420, v167
	v_dual_mul_f32 v162, 0x3eb8f4ab, v166 :: v_dual_add_f32 v95, v190, v95
	s_delay_alu instid0(VALU_DEP_4) | instskip(NEXT) | instid1(VALU_DEP_4)
	v_fmamk_f32 v193, v139, 0x3eb8f4ab, v163
	v_fma_f32 v190, 0xbf7ba420, v138, -v183
	global_wb scope:SCOPE_SE
	v_fma_f32 v192, 0x3f6eb680, v138, -v162
	v_fmamk_f32 v191, v139, 0xbe3c28d5, v184
	v_dual_add_f32 v95, v193, v95 :: v_dual_add_f32 v68, v190, v68
	s_barrier_signal -1
	s_delay_alu instid0(VALU_DEP_2)
	v_dual_add_f32 v94, v192, v94 :: v_dual_add_f32 v69, v191, v69
	s_barrier_wait -1
	global_inv scope:SCOPE_SE
	s_and_saveexec_b32 s1, vcc_lo
	s_cbranch_execz .LBB0_17
; %bb.16:
	v_dual_add_f32 v79, v79, v77 :: v_dual_add_f32 v78, v78, v76
	v_mul_f32_e32 v199, 0x3f763a35, v142
	v_mul_f32_e32 v212, 0x3f06c442, v142
	;; [unrolled: 1-line block ×3, first 2 shown]
	s_delay_alu instid0(VALU_DEP_4) | instskip(SKIP_2) | instid1(VALU_DEP_3)
	v_dual_add_f32 v79, v89, v79 :: v_dual_add_f32 v78, v88, v78
	v_mul_f32_e32 v209, 0x3ee437d1, v167
	v_dual_mul_f32 v193, 0xbe3c28d5, v159 :: v_dual_mul_f32 v208, 0xbe3c28d5, v164
	v_dual_add_f32 v79, v91, v79 :: v_dual_add_f32 v78, v90, v78
	v_mul_f32_e32 v195, 0x3f2c7751, v164
	v_mul_f32_e32 v197, 0xbf763a35, v166
	;; [unrolled: 1-line block ×3, first 2 shown]
	s_delay_alu instid0(VALU_DEP_4) | instskip(SKIP_3) | instid1(VALU_DEP_4)
	v_dual_add_f32 v79, v83, v79 :: v_dual_add_f32 v78, v82, v78
	v_mul_f32_e32 v203, 0x3dbcf732, v156
	v_mul_f32_e32 v207, 0xbf7ba420, v165
	;; [unrolled: 1-line block ×3, first 2 shown]
	v_dual_add_f32 v79, v85, v79 :: v_dual_add_f32 v78, v84, v78
	v_mul_f32_e32 v213, 0x3f2c7751, v146
	v_mul_f32_e32 v226, 0x3f763a35, v146
	;; [unrolled: 1-line block ×3, first 2 shown]
	s_delay_alu instid0(VALU_DEP_4) | instskip(SKIP_3) | instid1(VALU_DEP_4)
	v_dual_add_f32 v79, v105, v79 :: v_dual_add_f32 v78, v104, v78
	v_mul_f32_e32 v235, 0x3f3d2fb0, v167
	v_mul_f32_e32 v215, 0xbf65296c, v150
	v_mul_f32_e32 v217, 0xbe3c28d5, v155
	v_dual_add_f32 v79, v107, v79 :: v_dual_add_f32 v78, v106, v78
	v_mul_f32_e32 v219, 0x3f7ee86f, v159
	v_mul_f32_e32 v227, 0x3f6eb680, v152
	;; [unrolled: 1-line block ×3, first 2 shown]
	s_delay_alu instid0(VALU_DEP_4) | instskip(SKIP_2) | instid1(VALU_DEP_3)
	v_dual_add_f32 v79, v87, v79 :: v_dual_add_f32 v78, v86, v78
	v_mul_f32_e32 v83, 0xbe8c1d8e, v185
	v_mul_f32_e32 v204, 0x3f7ee86f, v155
	v_dual_mul_f32 v220, 0x3f6eb680, v165 :: v_dual_add_f32 v79, v99, v79
	s_delay_alu instid0(VALU_DEP_4) | instskip(SKIP_3) | instid1(VALU_DEP_4)
	v_add_f32_e32 v78, v98, v78
	v_mul_f32_e32 v98, 0xbf4c4adb, v174
	v_mul_f32_e32 v192, 0xbf7ba420, v160
	;; [unrolled: 1-line block ×3, first 2 shown]
	v_dual_add_f32 v79, v101, v79 :: v_dual_add_f32 v78, v100, v78
	v_mul_f32_e32 v100, 0xbf7ee86f, v174
	v_fmamk_f32 v104, v170, 0xbf1a4643, v98
	v_fma_f32 v98, 0xbf1a4643, v170, -v98
	s_delay_alu instid0(VALU_DEP_4) | instskip(SKIP_1) | instid1(VALU_DEP_4)
	v_dual_add_f32 v79, v103, v79 :: v_dual_add_f32 v78, v102, v78
	v_mul_f32_e32 v194, 0x3f3d2fb0, v165
	v_add_f32_e32 v104, v76, v104
	v_mul_f32_e32 v222, 0xbf1a4643, v167
	s_delay_alu instid0(VALU_DEP_4) | instskip(SKIP_2) | instid1(VALU_DEP_3)
	v_dual_add_f32 v79, v93, v79 :: v_dual_add_f32 v78, v92, v78
	v_mul_f32_e32 v93, 0xbf06c442, v174
	v_mul_f32_e32 v198, 0xbe8c1d8e, v143
	v_dual_mul_f32 v228, 0x3eb8f4ab, v150 :: v_dual_add_f32 v79, v81, v79
	s_delay_alu instid0(VALU_DEP_3) | instskip(SKIP_2) | instid1(VALU_DEP_3)
	v_dual_add_f32 v78, v80, v78 :: v_dual_fmamk_f32 v103, v170, 0xbf59a7d5, v93
	v_mul_f32_e32 v82, 0xbf1a4643, v185
	v_fma_f32 v93, 0xbf59a7d5, v170, -v93
	v_dual_add_f32 v73, v73, v79 :: v_dual_add_f32 v72, v72, v78
	s_delay_alu instid0(VALU_DEP_4) | instskip(SKIP_1) | instid1(VALU_DEP_3)
	v_add_f32_e32 v103, v76, v103
	v_mul_f32_e32 v79, 0x3f6eb680, v170
	v_dual_mul_f32 v78, 0xbeb8f4ab, v175 :: v_dual_add_f32 v73, v75, v73
	s_delay_alu instid0(VALU_DEP_4)
	v_add_f32_e32 v72, v74, v72
	v_fmamk_f32 v106, v170, 0x3dbcf732, v100
	v_fma_f32 v100, 0x3dbcf732, v170, -v100
	v_mul_f32_e32 v99, 0xbf763a35, v174
	v_dual_mul_f32 v92, 0xbe3c28d5, v174 :: v_dual_add_f32 v93, v76, v93
	v_add_f32_e32 v72, v115, v72
	v_add_f32_e32 v79, v79, v186
	s_delay_alu instid0(VALU_DEP_4) | instskip(SKIP_4) | instid1(VALU_DEP_3)
	v_fmamk_f32 v105, v170, 0xbe8c1d8e, v99
	v_fma_f32 v99, 0xbe8c1d8e, v170, -v99
	v_mul_f32_e32 v101, 0xbf65296c, v174
	v_dual_sub_f32 v78, v187, v78 :: v_dual_mul_f32 v81, 0xbf59a7d5, v185
	v_fmamk_f32 v102, v170, 0xbf7ba420, v92
	v_dual_add_f32 v190, v76, v99 :: v_dual_fmamk_f32 v107, v170, 0x3ee437d1, v101
	v_fmamk_f32 v88, v175, 0x3f4c4adb, v82
	s_delay_alu instid0(VALU_DEP_3) | instskip(NEXT) | instid1(VALU_DEP_3)
	v_dual_fmamk_f32 v87, v175, 0x3f06c442, v81 :: v_dual_add_f32 v102, v76, v102
	v_dual_mul_f32 v80, 0xbf7ba420, v185 :: v_dual_add_f32 v107, v76, v107
	s_delay_alu instid0(VALU_DEP_3) | instskip(SKIP_2) | instid1(VALU_DEP_2)
	v_dual_mul_f32 v75, 0x3f3d2fb0, v170 :: v_dual_add_f32 v88, v77, v88
	v_dual_mul_f32 v74, 0xbf2c7751, v175 :: v_dual_add_f32 v73, v116, v73
	v_dual_fmamk_f32 v89, v175, 0x3f763a35, v83 :: v_dual_add_f32 v106, v76, v106
	v_dual_add_f32 v75, v75, v188 :: v_dual_sub_f32 v74, v189, v74
	v_dual_add_f32 v87, v77, v87 :: v_dual_fmamk_f32 v86, v175, 0x3e3c28d5, v80
	s_delay_alu instid0(VALU_DEP_3) | instskip(SKIP_2) | instid1(VALU_DEP_4)
	v_add_f32_e32 v89, v77, v89
	v_mul_f32_e32 v85, 0x3ee437d1, v185
	v_dual_fmac_f32 v80, 0xbe3c28d5, v175 :: v_dual_add_f32 v105, v76, v105
	v_add_f32_e32 v86, v77, v86
	s_delay_alu instid0(VALU_DEP_3)
	v_dual_add_f32 v174, v76, v75 :: v_dual_fmamk_f32 v91, v175, 0x3f65296c, v85
	v_mul_f32_e32 v84, 0x3dbcf732, v185
	v_fmac_f32_e32 v82, 0xbf4c4adb, v175
	v_fmac_f32_e32 v83, 0xbf763a35, v175
	;; [unrolled: 1-line block ×3, first 2 shown]
	v_fma_f32 v92, 0xbf7ba420, v170, -v92
	v_dual_add_f32 v91, v77, v91 :: v_dual_fmamk_f32 v90, v175, 0x3f7ee86f, v84
	v_add_f32_e32 v75, v76, v79
	v_fmac_f32_e32 v81, 0xbf06c442, v175
	s_delay_alu instid0(VALU_DEP_4)
	v_dual_fmac_f32 v84, 0xbf7ee86f, v175 :: v_dual_add_f32 v185, v76, v92
	v_add_f32_e32 v175, v77, v80
	v_mul_f32_e32 v80, 0x3f3d2fb0, v96
	v_mul_f32_e32 v79, 0xbf2c7751, v97
	v_fma_f32 v101, 0x3ee437d1, v170, -v101
	v_add_f32_e32 v170, v77, v74
	v_add_f32_e32 v74, v77, v78
	s_delay_alu instid0(VALU_DEP_4) | instskip(SKIP_3) | instid1(VALU_DEP_4)
	v_dual_add_f32 v80, v80, v168 :: v_dual_sub_f32 v79, v169, v79
	v_add_f32_e32 v78, v76, v100
	v_mul_f32_e32 v100, 0xbf59a7d5, v148
	v_mul_f32_e32 v99, 0x3eb8f4ab, v142
	v_dual_add_f32 v75, v80, v75 :: v_dual_mul_f32 v80, 0x3ee437d1, v128
	v_dual_add_f32 v74, v79, v74 :: v_dual_mul_f32 v79, 0xbf65296c, v129
	v_add_f32_e32 v187, v77, v82
	v_add_f32_e32 v188, v76, v98
	s_delay_alu instid0(VALU_DEP_4) | instskip(SKIP_2) | instid1(VALU_DEP_3)
	v_add_f32_e32 v80, v80, v171
	v_mul_f32_e32 v98, 0x3f6eb680, v143
	v_dual_sub_f32 v79, v172, v79 :: v_dual_add_f32 v90, v77, v90
	v_dual_add_f32 v186, v77, v81 :: v_dual_add_f32 v75, v80, v75
	v_mul_f32_e32 v80, 0x3dbcf732, v130
	s_delay_alu instid0(VALU_DEP_3) | instskip(SKIP_2) | instid1(VALU_DEP_4)
	v_dual_add_f32 v74, v79, v74 :: v_dual_mul_f32 v79, 0xbf7ee86f, v131
	v_mul_f32_e32 v116, 0xbf1a4643, v156
	v_add_f32_e32 v76, v76, v101
	v_dual_add_f32 v80, v80, v173 :: v_dual_mul_f32 v101, 0xbf06c442, v146
	s_delay_alu instid0(VALU_DEP_4) | instskip(SKIP_2) | instid1(VALU_DEP_4)
	v_sub_f32_e32 v79, v176, v79
	v_add_f32_e32 v191, v77, v84
	v_mul_f32_e32 v115, 0x3f2c7751, v150
	v_dual_add_f32 v75, v80, v75 :: v_dual_mul_f32 v80, 0xbf06c442, v137
	s_delay_alu instid0(VALU_DEP_4) | instskip(SKIP_2) | instid1(VALU_DEP_4)
	v_dual_add_f32 v74, v79, v74 :: v_dual_mul_f32 v79, 0xbf763a35, v133
	v_fmamk_f32 v84, v96, 0xbe8c1d8e, v199
	v_mul_f32_e32 v172, 0xbe8c1d8e, v165
	v_sub_f32_e32 v80, v182, v80
	v_mul_f32_e32 v168, 0xbf4c4adb, v155
	s_delay_alu instid0(VALU_DEP_4) | instskip(SKIP_2) | instid1(VALU_DEP_3)
	v_dual_sub_f32 v79, v178, v79 :: v_dual_add_f32 v84, v84, v104
	v_dual_mul_f32 v169, 0x3ee437d1, v160 :: v_dual_mul_f32 v178, 0x3ee437d1, v143
	v_mul_f32_e32 v182, 0x3f4c4adb, v150
	v_dual_add_f32 v74, v79, v74 :: v_dual_mul_f32 v79, 0xbf4c4adb, v135
	v_mul_f32_e32 v171, 0x3f65296c, v159
	v_dual_add_f32 v189, v77, v83 :: v_dual_mul_f32 v104, 0x3f6eb680, v148
	v_add_f32_e32 v77, v77, v85
	s_delay_alu instid0(VALU_DEP_4) | instskip(SKIP_1) | instid1(VALU_DEP_4)
	v_dual_sub_f32 v79, v180, v79 :: v_dual_mul_f32 v180, 0xbf7ee86f, v146
	v_mul_f32_e32 v92, 0xbf4c4adb, v129
	v_fmamk_f32 v85, v129, 0x3eb8f4ab, v104
	s_delay_alu instid0(VALU_DEP_3) | instskip(SKIP_4) | instid1(VALU_DEP_4)
	v_dual_mul_f32 v205, 0x3f3d2fb0, v160 :: v_dual_add_f32 v74, v79, v74
	v_mul_f32_e32 v79, 0xbe8c1d8e, v132
	v_mul_f32_e32 v216, 0xbf7ba420, v156
	;; [unrolled: 1-line block ×4, first 2 shown]
	v_dual_add_f32 v74, v80, v74 :: v_dual_add_f32 v79, v79, v177
	v_mul_f32_e32 v80, 0xbe3c28d5, v139
	v_mul_f32_e32 v177, 0x3f7ee86f, v166
	v_mul_f32_e32 v176, 0x3dbcf732, v167
	s_delay_alu instid0(VALU_DEP_4) | instskip(NEXT) | instid1(VALU_DEP_4)
	v_dual_mul_f32 v202, 0xbf06c442, v150 :: v_dual_add_f32 v75, v79, v75
	v_dual_mul_f32 v79, 0xbf1a4643, v134 :: v_dual_sub_f32 v80, v184, v80
	v_mul_f32_e32 v184, 0xbeb8f4ab, v155
	v_mul_f32_e32 v214, 0x3ee437d1, v152
	s_delay_alu instid0(VALU_DEP_3) | instskip(SKIP_3) | instid1(VALU_DEP_4)
	v_dual_mul_f32 v210, 0x3f65296c, v166 :: v_dual_add_f32 v79, v79, v179
	v_mul_f32_e32 v179, 0x3f65296c, v142
	v_mul_f32_e32 v224, 0xbf7ba420, v143
	v_sub_f32_e32 v92, v145, v92
	v_dual_mul_f32 v218, 0x3dbcf732, v160 :: v_dual_add_f32 v75, v79, v75
	s_delay_alu instid0(VALU_DEP_4) | instskip(SKIP_4) | instid1(VALU_DEP_4)
	v_fmamk_f32 v82, v96, 0x3ee437d1, v179
	v_mul_f32_e32 v79, 0xbf59a7d5, v136
	v_mul_f32_e32 v236, 0x3f2c7751, v166
	;; [unrolled: 1-line block ×4, first 2 shown]
	v_dual_add_f32 v82, v82, v103 :: v_dual_add_f32 v79, v79, v181
	v_mul_f32_e32 v181, 0xbf1a4643, v152
	v_mul_f32_e32 v230, 0xbf65296c, v155
	;; [unrolled: 1-line block ×3, first 2 shown]
	s_delay_alu instid0(VALU_DEP_4) | instskip(SKIP_4) | instid1(VALU_DEP_4)
	v_dual_mul_f32 v166, 0xbf06c442, v166 :: v_dual_add_f32 v79, v79, v75
	v_mul_f32_e32 v75, 0xbf7ba420, v138
	v_mul_f32_e32 v232, 0xbf06c442, v159
	;; [unrolled: 1-line block ×4, first 2 shown]
	v_dual_mul_f32 v150, 0x3f763a35, v150 :: v_dual_add_f32 v81, v75, v183
	v_add_f32_e32 v75, v80, v74
	v_dual_fmamk_f32 v80, v96, 0x3f6eb680, v99 :: v_dual_mul_f32 v183, 0x3f6eb680, v156
	v_fmac_f32_e32 v104, 0xbeb8f4ab, v129
	s_delay_alu instid0(VALU_DEP_2) | instskip(SKIP_4) | instid1(VALU_DEP_2)
	v_add_f32_e32 v80, v80, v102
	v_mul_f32_e32 v102, 0x3f3d2fb0, v152
	v_add_f32_e32 v74, v81, v79
	v_fmamk_f32 v79, v97, 0xbeb8f4ab, v98
	v_fmamk_f32 v81, v129, 0x3f06c442, v100
	v_dual_add_f32 v79, v79, v86 :: v_dual_fmamk_f32 v86, v96, 0xbf59a7d5, v212
	v_mul_f32_e32 v173, 0xbf763a35, v164
	s_delay_alu instid0(VALU_DEP_2) | instskip(NEXT) | instid1(VALU_DEP_3)
	v_add_f32_e32 v79, v81, v79
	v_dual_fmamk_f32 v81, v128, 0xbf59a7d5, v101 :: v_dual_add_f32 v86, v86, v105
	v_mul_f32_e32 v103, 0x3dbcf732, v148
	v_mul_f32_e32 v105, 0x3f3d2fb0, v148
	s_delay_alu instid0(VALU_DEP_3) | instskip(NEXT) | instid1(VALU_DEP_3)
	v_dual_add_f32 v80, v81, v80 :: v_dual_fmamk_f32 v81, v131, 0xbf2c7751, v102
	v_fmamk_f32 v83, v129, 0x3f7ee86f, v103
	s_delay_alu instid0(VALU_DEP_2) | instskip(SKIP_1) | instid1(VALU_DEP_1)
	v_add_f32_e32 v79, v81, v79
	v_fmamk_f32 v81, v130, 0x3f3d2fb0, v115
	v_add_f32_e32 v80, v81, v80
	v_fmamk_f32 v81, v133, 0x3f4c4adb, v116
	v_fmac_f32_e32 v116, 0xbf4c4adb, v133
	v_mul_f32_e32 v221, 0xbeb8f4ab, v164
	s_delay_alu instid0(VALU_DEP_3) | instskip(SKIP_1) | instid1(VALU_DEP_1)
	v_dual_mul_f32 v164, 0xbf7ee86f, v164 :: v_dual_add_f32 v79, v81, v79
	v_fmamk_f32 v81, v132, 0xbf1a4643, v168
	v_dual_add_f32 v80, v81, v80 :: v_dual_fmamk_f32 v81, v135, 0xbf65296c, v169
	v_fma_f32 v99, 0x3f6eb680, v96, -v99
	v_fmac_f32_e32 v102, 0x3f2c7751, v131
	v_fmac_f32_e32 v169, 0x3f65296c, v135
	s_delay_alu instid0(VALU_DEP_4) | instskip(SKIP_3) | instid1(VALU_DEP_3)
	v_add_f32_e32 v79, v81, v79
	v_fmamk_f32 v81, v134, 0x3ee437d1, v171
	v_add_f32_e32 v99, v99, v185
	v_fmac_f32_e32 v98, 0x3eb8f4ab, v97
	v_add_f32_e32 v80, v81, v80
	s_delay_alu instid0(VALU_DEP_2) | instskip(NEXT) | instid1(VALU_DEP_1)
	v_dual_fmamk_f32 v81, v137, 0x3f763a35, v172 :: v_dual_add_f32 v98, v98, v175
	v_add_f32_e32 v79, v81, v79
	v_fmamk_f32 v81, v136, 0xbe8c1d8e, v173
	s_delay_alu instid0(VALU_DEP_1) | instskip(NEXT) | instid1(VALU_DEP_1)
	v_dual_add_f32 v81, v81, v80 :: v_dual_fmamk_f32 v80, v139, 0xbf7ee86f, v176
	v_dual_add_f32 v80, v80, v79 :: v_dual_fmamk_f32 v79, v138, 0x3dbcf732, v177
	v_fmac_f32_e32 v176, 0x3f7ee86f, v139
	v_fmac_f32_e32 v100, 0xbf06c442, v129
	s_delay_alu instid0(VALU_DEP_3) | instskip(NEXT) | instid1(VALU_DEP_2)
	v_add_f32_e32 v79, v79, v81
	v_dual_fmamk_f32 v81, v97, 0xbf65296c, v178 :: v_dual_add_f32 v98, v100, v98
	v_fma_f32 v100, 0xbf59a7d5, v128, -v101
	v_fmac_f32_e32 v178, 0x3f65296c, v97
	v_fma_f32 v101, 0x3dbcf732, v138, -v177
	s_delay_alu instid0(VALU_DEP_4) | instskip(SKIP_2) | instid1(VALU_DEP_3)
	v_add_f32_e32 v81, v81, v87
	v_dual_fmamk_f32 v87, v129, 0xbf2c7751, v105 :: v_dual_add_f32 v98, v102, v98
	v_add_f32_e32 v99, v100, v99
	v_add_f32_e32 v81, v83, v81
	v_fmamk_f32 v83, v128, 0x3dbcf732, v180
	s_delay_alu instid0(VALU_DEP_1) | instskip(SKIP_1) | instid1(VALU_DEP_1)
	v_add_f32_e32 v82, v83, v82
	v_fmamk_f32 v83, v131, 0xbf4c4adb, v181
	v_add_f32_e32 v81, v83, v81
	v_fmamk_f32 v83, v130, 0xbf1a4643, v182
	s_delay_alu instid0(VALU_DEP_1) | instskip(SKIP_1) | instid1(VALU_DEP_2)
	v_dual_add_f32 v82, v83, v82 :: v_dual_fmamk_f32 v83, v133, 0x3eb8f4ab, v183
	v_fmac_f32_e32 v183, 0xbeb8f4ab, v133
	v_add_f32_e32 v81, v83, v81
	v_fmamk_f32 v83, v132, 0x3f6eb680, v184
	s_delay_alu instid0(VALU_DEP_1) | instskip(SKIP_1) | instid1(VALU_DEP_1)
	v_add_f32_e32 v82, v83, v82
	v_fmamk_f32 v83, v135, 0x3e3c28d5, v192
	v_dual_fmac_f32 v192, 0xbe3c28d5, v135 :: v_dual_add_f32 v81, v83, v81
	v_fmamk_f32 v83, v134, 0xbf7ba420, v193
	s_delay_alu instid0(VALU_DEP_1) | instskip(SKIP_1) | instid1(VALU_DEP_2)
	v_dual_add_f32 v82, v83, v82 :: v_dual_fmamk_f32 v83, v137, 0xbf2c7751, v194
	v_fmac_f32_e32 v194, 0x3f2c7751, v137
	v_add_f32_e32 v81, v83, v81
	v_fmamk_f32 v83, v136, 0x3f3d2fb0, v195
	s_delay_alu instid0(VALU_DEP_1) | instskip(SKIP_2) | instid1(VALU_DEP_2)
	v_add_f32_e32 v83, v83, v82
	v_fmamk_f32 v82, v139, 0x3f763a35, v196
	v_fmac_f32_e32 v196, 0xbf763a35, v139
	v_add_f32_e32 v82, v82, v81
	v_fmamk_f32 v81, v138, 0xbe8c1d8e, v197
	v_fma_f32 v100, 0x3f3d2fb0, v130, -v115
	s_delay_alu instid0(VALU_DEP_2) | instskip(SKIP_1) | instid1(VALU_DEP_3)
	v_add_f32_e32 v81, v81, v83
	v_fmamk_f32 v83, v97, 0xbf763a35, v198
	v_add_f32_e32 v99, v100, v99
	v_add_f32_e32 v98, v116, v98
	v_fma_f32 v100, 0xbf1a4643, v132, -v168
	s_delay_alu instid0(VALU_DEP_4) | instskip(SKIP_1) | instid1(VALU_DEP_3)
	v_dual_fmac_f32 v172, 0xbf763a35, v137 :: v_dual_add_f32 v83, v83, v88
	v_fmamk_f32 v88, v96, 0xbf7ba420, v225
	v_dual_add_f32 v98, v169, v98 :: v_dual_add_f32 v99, v100, v99
	s_delay_alu instid0(VALU_DEP_3) | instskip(SKIP_1) | instid1(VALU_DEP_4)
	v_dual_fmac_f32 v198, 0x3f763a35, v97 :: v_dual_add_f32 v83, v85, v83
	v_fmamk_f32 v85, v128, 0x3f6eb680, v200
	v_add_f32_e32 v88, v88, v106
	v_mul_f32_e32 v106, 0xbe8c1d8e, v148
	v_add_f32_e32 v98, v172, v98
	s_delay_alu instid0(VALU_DEP_4) | instskip(SKIP_1) | instid1(VALU_DEP_2)
	v_dual_add_f32 v84, v85, v84 :: v_dual_fmamk_f32 v85, v131, 0x3f06c442, v201
	v_fmac_f32_e32 v201, 0xbf06c442, v131
	v_add_f32_e32 v83, v85, v83
	v_fmamk_f32 v85, v130, 0xbf59a7d5, v202
	s_delay_alu instid0(VALU_DEP_1) | instskip(SKIP_2) | instid1(VALU_DEP_2)
	v_add_f32_e32 v84, v85, v84
	v_fmamk_f32 v85, v133, 0xbf7ee86f, v203
	v_fma_f32 v100, 0x3ee437d1, v134, -v171
	v_add_f32_e32 v83, v85, v83
	v_fmamk_f32 v85, v132, 0x3dbcf732, v204
	s_delay_alu instid0(VALU_DEP_3) | instskip(SKIP_1) | instid1(VALU_DEP_3)
	v_add_f32_e32 v99, v100, v99
	v_fma_f32 v100, 0xbe8c1d8e, v136, -v173
	v_dual_add_f32 v84, v85, v84 :: v_dual_fmamk_f32 v85, v135, 0x3f2c7751, v205
	s_delay_alu instid0(VALU_DEP_2) | instskip(SKIP_1) | instid1(VALU_DEP_3)
	v_dual_add_f32 v100, v100, v99 :: v_dual_mul_f32 v233, 0xbf1a4643, v165
	v_add_f32_e32 v99, v176, v98
	v_add_f32_e32 v83, v85, v83
	s_delay_alu instid0(VALU_DEP_3) | instskip(SKIP_1) | instid1(VALU_DEP_2)
	v_dual_fmamk_f32 v85, v134, 0x3f3d2fb0, v206 :: v_dual_add_f32 v98, v101, v100
	v_add_f32_e32 v100, v178, v186
	v_add_f32_e32 v84, v85, v84
	v_fmamk_f32 v85, v137, 0x3e3c28d5, v207
	v_fma_f32 v101, 0x3ee437d1, v96, -v179
	s_delay_alu instid0(VALU_DEP_2) | instskip(SKIP_1) | instid1(VALU_DEP_3)
	v_add_f32_e32 v83, v85, v83
	v_fmamk_f32 v85, v136, 0xbf7ba420, v208
	v_add_f32_e32 v93, v101, v93
	v_fma_f32 v101, 0x3dbcf732, v128, -v180
	s_delay_alu instid0(VALU_DEP_3) | instskip(NEXT) | instid1(VALU_DEP_2)
	v_dual_add_f32 v85, v85, v84 :: v_dual_fmamk_f32 v84, v139, 0xbf65296c, v209
	v_add_f32_e32 v93, v101, v93
	v_fma_f32 v101, 0xbf1a4643, v130, -v182
	s_delay_alu instid0(VALU_DEP_3) | instskip(NEXT) | instid1(VALU_DEP_2)
	v_dual_add_f32 v84, v84, v83 :: v_dual_fmamk_f32 v83, v138, 0x3ee437d1, v210
	v_add_f32_e32 v93, v101, v93
	v_fma_f32 v101, 0x3f6eb680, v132, -v184
	s_delay_alu instid0(VALU_DEP_3) | instskip(SKIP_1) | instid1(VALU_DEP_3)
	v_add_f32_e32 v83, v83, v85
	v_fmamk_f32 v85, v97, 0xbf06c442, v211
	v_add_f32_e32 v93, v101, v93
	v_fma_f32 v101, 0xbf7ba420, v134, -v193
	s_delay_alu instid0(VALU_DEP_3) | instskip(SKIP_1) | instid1(VALU_DEP_3)
	v_add_f32_e32 v85, v85, v89
	v_fmamk_f32 v89, v129, 0xbf763a35, v106
	v_add_f32_e32 v93, v101, v93
	v_fmac_f32_e32 v106, 0x3f763a35, v129
	s_delay_alu instid0(VALU_DEP_4) | instskip(SKIP_1) | instid1(VALU_DEP_1)
	v_add_f32_e32 v85, v87, v85
	v_fmamk_f32 v87, v128, 0x3f3d2fb0, v213
	v_add_f32_e32 v86, v87, v86
	v_fmamk_f32 v87, v131, 0x3f65296c, v214
	v_fmac_f32_e32 v103, 0xbf7ee86f, v129
	s_delay_alu instid0(VALU_DEP_2) | instskip(NEXT) | instid1(VALU_DEP_2)
	v_dual_fmac_f32 v214, 0xbf65296c, v131 :: v_dual_add_f32 v85, v87, v85
	v_dual_fmamk_f32 v87, v130, 0x3ee437d1, v215 :: v_dual_add_f32 v100, v103, v100
	v_fma_f32 v103, 0x3f6eb680, v128, -v200
	s_delay_alu instid0(VALU_DEP_2) | instskip(SKIP_2) | instid1(VALU_DEP_2)
	v_dual_mul_f32 v231, 0xbf59a7d5, v160 :: v_dual_add_f32 v86, v87, v86
	v_fmamk_f32 v87, v133, 0x3e3c28d5, v216
	v_fmac_f32_e32 v216, 0xbe3c28d5, v133
	v_add_f32_e32 v85, v87, v85
	v_fmamk_f32 v87, v132, 0xbf7ba420, v217
	s_delay_alu instid0(VALU_DEP_1) | instskip(SKIP_1) | instid1(VALU_DEP_1)
	v_add_f32_e32 v86, v87, v86
	v_fmamk_f32 v87, v135, 0xbf7ee86f, v218
	v_dual_fmac_f32 v218, 0x3f7ee86f, v135 :: v_dual_add_f32 v85, v87, v85
	v_fmamk_f32 v87, v134, 0x3dbcf732, v219
	s_delay_alu instid0(VALU_DEP_1) | instskip(SKIP_2) | instid1(VALU_DEP_3)
	v_dual_add_f32 v86, v87, v86 :: v_dual_fmamk_f32 v87, v137, 0x3eb8f4ab, v220
	v_fmac_f32_e32 v181, 0x3f4c4adb, v131
	v_fmac_f32_e32 v220, 0xbeb8f4ab, v137
	v_add_f32_e32 v85, v87, v85
	s_delay_alu instid0(VALU_DEP_3) | instskip(NEXT) | instid1(VALU_DEP_1)
	v_dual_fmamk_f32 v87, v136, 0x3f6eb680, v221 :: v_dual_add_f32 v100, v181, v100
	v_add_f32_e32 v87, v87, v86
	v_fmamk_f32 v86, v139, 0x3f4c4adb, v222
	s_delay_alu instid0(VALU_DEP_3) | instskip(SKIP_1) | instid1(VALU_DEP_3)
	v_add_f32_e32 v100, v183, v100
	v_fmac_f32_e32 v222, 0xbf4c4adb, v139
	v_add_f32_e32 v86, v86, v85
	s_delay_alu instid0(VALU_DEP_3) | instskip(NEXT) | instid1(VALU_DEP_1)
	v_dual_fmamk_f32 v85, v138, 0xbf1a4643, v223 :: v_dual_add_f32 v100, v192, v100
	v_add_f32_e32 v85, v85, v87
	s_delay_alu instid0(VALU_DEP_2) | instskip(NEXT) | instid1(VALU_DEP_1)
	v_dual_fmamk_f32 v87, v97, 0x3e3c28d5, v224 :: v_dual_add_f32 v100, v194, v100
	v_dual_fmac_f32 v224, 0xbe3c28d5, v97 :: v_dual_add_f32 v87, v87, v90
	s_delay_alu instid0(VALU_DEP_1) | instskip(NEXT) | instid1(VALU_DEP_1)
	v_dual_fmamk_f32 v90, v96, 0xbf1a4643, v142 :: v_dual_add_f32 v87, v89, v87
	v_dual_fmamk_f32 v89, v128, 0xbe8c1d8e, v226 :: v_dual_add_f32 v90, v90, v107
	v_mul_f32_e32 v107, 0xbf7ba420, v148
	v_mul_f32_e32 v148, 0xbe8c1d8e, v152
	;; [unrolled: 1-line block ×3, first 2 shown]
	s_delay_alu instid0(VALU_DEP_4) | instskip(SKIP_3) | instid1(VALU_DEP_4)
	v_dual_add_f32 v88, v89, v88 :: v_dual_fmamk_f32 v89, v131, 0xbeb8f4ab, v227
	v_mul_f32_e32 v156, 0x3f6eb680, v160
	v_mul_f32_e32 v160, 0x3dbcf732, v165
	;; [unrolled: 1-line block ×3, first 2 shown]
	v_add_f32_e32 v87, v89, v87
	v_fmamk_f32 v89, v130, 0x3f6eb680, v228
	s_delay_alu instid0(VALU_DEP_1) | instskip(SKIP_1) | instid1(VALU_DEP_1)
	v_add_f32_e32 v88, v89, v88
	v_fmamk_f32 v89, v133, 0x3f65296c, v229
	v_add_f32_e32 v87, v89, v87
	v_fmamk_f32 v89, v132, 0x3ee437d1, v230
	s_delay_alu instid0(VALU_DEP_1) | instskip(NEXT) | instid1(VALU_DEP_1)
	v_dual_add_f32 v88, v89, v88 :: v_dual_fmamk_f32 v89, v135, 0x3f06c442, v231
	v_add_f32_e32 v87, v89, v87
	v_fmamk_f32 v89, v134, 0xbf59a7d5, v232
	s_delay_alu instid0(VALU_DEP_1) | instskip(SKIP_3) | instid1(VALU_DEP_3)
	v_add_f32_e32 v88, v89, v88
	v_fmamk_f32 v89, v137, 0xbf4c4adb, v233
	v_fma_f32 v102, 0xbe8c1d8e, v138, -v197
	v_fmac_f32_e32 v233, 0x3f4c4adb, v137
	v_add_f32_e32 v87, v89, v87
	v_fmamk_f32 v89, v136, 0xbf1a4643, v234
	s_delay_alu instid0(VALU_DEP_1) | instskip(SKIP_1) | instid1(VALU_DEP_2)
	v_dual_add_f32 v89, v89, v88 :: v_dual_fmamk_f32 v88, v139, 0xbf2c7751, v235
	v_fmac_f32_e32 v235, 0x3f2c7751, v139
	v_dual_add_f32 v88, v88, v87 :: v_dual_fmamk_f32 v87, v138, 0x3f3d2fb0, v236
	v_fma_f32 v101, 0x3f3d2fb0, v136, -v195
	s_delay_alu instid0(VALU_DEP_2) | instskip(NEXT) | instid1(VALU_DEP_2)
	v_add_f32_e32 v87, v87, v89
	v_add_f32_e32 v93, v101, v93
	s_delay_alu instid0(VALU_DEP_1) | instskip(SKIP_2) | instid1(VALU_DEP_2)
	v_dual_add_f32 v101, v196, v100 :: v_dual_add_f32 v100, v102, v93
	v_add_f32_e32 v93, v198, v187
	v_fmac_f32_e32 v229, 0xbf65296c, v133
	v_add_f32_e32 v93, v104, v93
	v_fma_f32 v104, 0x3ee437d1, v138, -v210
	v_mul_f32_e32 v143, 0xbf1a4643, v143
	s_delay_alu instid0(VALU_DEP_3) | instskip(NEXT) | instid1(VALU_DEP_2)
	v_add_f32_e32 v93, v201, v93
	v_fmamk_f32 v89, v97, 0x3f4c4adb, v143
	s_delay_alu instid0(VALU_DEP_1) | instskip(SKIP_1) | instid1(VALU_DEP_1)
	v_add_f32_e32 v89, v89, v91
	v_fmamk_f32 v91, v129, 0xbe3c28d5, v107
	v_add_f32_e32 v89, v91, v89
	v_fmamk_f32 v91, v128, 0xbf7ba420, v146
	s_delay_alu instid0(VALU_DEP_1) | instskip(SKIP_1) | instid1(VALU_DEP_1)
	v_add_f32_e32 v90, v91, v90
	v_fmamk_f32 v91, v131, 0xbf763a35, v148
	v_dual_fmac_f32 v148, 0x3f763a35, v131 :: v_dual_add_f32 v89, v91, v89
	v_fmamk_f32 v91, v130, 0xbe8c1d8e, v150
	s_delay_alu instid0(VALU_DEP_1) | instskip(SKIP_1) | instid1(VALU_DEP_2)
	v_dual_add_f32 v90, v91, v90 :: v_dual_fmamk_f32 v91, v133, 0xbf2c7751, v152
	v_fmac_f32_e32 v152, 0x3f2c7751, v133
	v_add_f32_e32 v89, v91, v89
	v_fmamk_f32 v91, v132, 0x3f3d2fb0, v155
	s_delay_alu instid0(VALU_DEP_1) | instskip(SKIP_3) | instid1(VALU_DEP_3)
	v_add_f32_e32 v90, v91, v90
	v_fmamk_f32 v91, v135, 0x3eb8f4ab, v156
	v_fmac_f32_e32 v156, 0xbeb8f4ab, v135
	v_fmac_f32_e32 v203, 0x3f7ee86f, v133
	v_add_f32_e32 v89, v91, v89
	v_fmamk_f32 v91, v134, 0x3f6eb680, v159
	s_delay_alu instid0(VALU_DEP_3) | instskip(NEXT) | instid1(VALU_DEP_2)
	v_add_f32_e32 v93, v203, v93
	v_dual_add_f32 v90, v91, v90 :: v_dual_fmamk_f32 v91, v137, 0x3f7ee86f, v160
	v_fmac_f32_e32 v160, 0xbf7ee86f, v137
	s_delay_alu instid0(VALU_DEP_2) | instskip(SKIP_1) | instid1(VALU_DEP_1)
	v_add_f32_e32 v89, v91, v89
	v_fmamk_f32 v91, v136, 0x3dbcf732, v164
	v_add_f32_e32 v91, v91, v90
	v_fmamk_f32 v90, v139, 0x3f06c442, v165
	s_delay_alu instid0(VALU_DEP_1) | instskip(SKIP_2) | instid1(VALU_DEP_2)
	v_add_f32_e32 v90, v90, v89
	v_fmamk_f32 v89, v138, 0xbf59a7d5, v166
	v_fma_f32 v102, 0xbe8c1d8e, v96, -v199
	v_add_f32_e32 v89, v89, v91
	s_delay_alu instid0(VALU_DEP_2) | instskip(NEXT) | instid1(VALU_DEP_1)
	v_dual_mul_f32 v91, 0xbf7ee86f, v97 :: v_dual_add_f32 v102, v102, v188
	v_sub_f32_e32 v91, v141, v91
	s_delay_alu instid0(VALU_DEP_2) | instskip(SKIP_2) | instid1(VALU_DEP_3)
	v_dual_mul_f32 v141, 0x3dbcf732, v96 :: v_dual_add_f32 v102, v103, v102
	v_fma_f32 v103, 0xbf59a7d5, v130, -v202
	v_fmac_f32_e32 v231, 0xbf06c442, v135
	v_dual_add_f32 v91, v91, v170 :: v_dual_add_f32 v140, v141, v140
	s_delay_alu instid0(VALU_DEP_3) | instskip(SKIP_1) | instid1(VALU_DEP_3)
	v_dual_mul_f32 v141, 0xbf1a4643, v128 :: v_dual_add_f32 v102, v103, v102
	v_fma_f32 v103, 0x3dbcf732, v132, -v204
	v_add_f32_e32 v91, v92, v91
	v_mul_f32_e32 v92, 0xbe3c28d5, v131
	s_delay_alu instid0(VALU_DEP_4) | instskip(NEXT) | instid1(VALU_DEP_4)
	v_dual_add_f32 v140, v140, v174 :: v_dual_add_f32 v141, v141, v144
	v_dual_fmac_f32 v205, 0xbf2c7751, v135 :: v_dual_add_f32 v102, v103, v102
	s_delay_alu instid0(VALU_DEP_3) | instskip(SKIP_1) | instid1(VALU_DEP_4)
	v_sub_f32_e32 v92, v149, v92
	v_fma_f32 v103, 0x3f3d2fb0, v134, -v206
	v_dual_add_f32 v140, v141, v140 :: v_dual_mul_f32 v141, 0xbf7ba420, v130
	s_delay_alu instid0(VALU_DEP_4) | instskip(NEXT) | instid1(VALU_DEP_4)
	v_add_f32_e32 v93, v205, v93
	v_dual_add_f32 v91, v92, v91 :: v_dual_mul_f32 v92, 0x3f06c442, v133
	v_fmac_f32_e32 v207, 0xbe3c28d5, v137
	s_delay_alu instid0(VALU_DEP_4) | instskip(SKIP_1) | instid1(VALU_DEP_3)
	v_dual_add_f32 v141, v141, v147 :: v_dual_add_f32 v102, v103, v102
	v_fma_f32 v103, 0xbf7ba420, v136, -v208
	v_dual_sub_f32 v92, v154, v92 :: v_dual_add_f32 v93, v207, v93
	s_delay_alu instid0(VALU_DEP_2) | instskip(NEXT) | instid1(VALU_DEP_2)
	v_dual_fmac_f32 v209, 0x3f65296c, v139 :: v_dual_add_f32 v102, v103, v102
	v_add_f32_e32 v91, v92, v91
	s_delay_alu instid0(VALU_DEP_2) | instskip(NEXT) | instid1(VALU_DEP_3)
	v_dual_mul_f32 v92, 0x3f763a35, v135 :: v_dual_add_f32 v103, v209, v93
	v_add_f32_e32 v102, v104, v102
	v_fma_f32 v104, 0xbf59a7d5, v96, -v212
	s_delay_alu instid0(VALU_DEP_3) | instskip(NEXT) | instid1(VALU_DEP_2)
	v_dual_sub_f32 v92, v158, v92 :: v_dual_fmac_f32 v211, 0x3f06c442, v97
	v_dual_fmac_f32 v143, 0xbf4c4adb, v97 :: v_dual_add_f32 v104, v104, v190
	s_delay_alu instid0(VALU_DEP_2) | instskip(NEXT) | instid1(VALU_DEP_3)
	v_dual_add_f32 v91, v92, v91 :: v_dual_add_f32 v92, v141, v140
	v_dual_mul_f32 v140, 0xbf59a7d5, v132 :: v_dual_add_f32 v93, v211, v189
	s_delay_alu instid0(VALU_DEP_3) | instskip(NEXT) | instid1(VALU_DEP_2)
	v_add_f32_e32 v77, v143, v77
	v_dual_mul_f32 v141, 0x3f65296c, v137 :: v_dual_add_f32 v140, v140, v151
	v_fmac_f32_e32 v105, 0x3f2c7751, v129
	s_delay_alu instid0(VALU_DEP_2) | instskip(NEXT) | instid1(VALU_DEP_2)
	v_dual_sub_f32 v141, v161, v141 :: v_dual_add_f32 v92, v140, v92
	v_dual_mul_f32 v140, 0xbe8c1d8e, v134 :: v_dual_add_f32 v93, v105, v93
	v_fma_f32 v105, 0x3f3d2fb0, v128, -v213
	s_delay_alu instid0(VALU_DEP_3) | instskip(NEXT) | instid1(VALU_DEP_3)
	v_add_f32_e32 v91, v141, v91
	v_dual_mul_f32 v141, 0x3eb8f4ab, v139 :: v_dual_add_f32 v140, v140, v153
	s_delay_alu instid0(VALU_DEP_3) | instskip(NEXT) | instid1(VALU_DEP_2)
	v_dual_add_f32 v93, v214, v93 :: v_dual_add_f32 v104, v105, v104
	v_dual_sub_f32 v141, v163, v141 :: v_dual_add_f32 v92, v140, v92
	v_mul_f32_e32 v140, 0x3ee437d1, v136
	v_fma_f32 v105, 0x3ee437d1, v130, -v215
	s_delay_alu instid0(VALU_DEP_4) | instskip(NEXT) | instid1(VALU_DEP_3)
	v_add_f32_e32 v93, v216, v93
	v_add_f32_e32 v140, v140, v157
	s_delay_alu instid0(VALU_DEP_2) | instskip(NEXT) | instid1(VALU_DEP_2)
	v_dual_add_f32 v104, v105, v104 :: v_dual_add_f32 v93, v218, v93
	v_add_f32_e32 v140, v140, v92
	v_mul_f32_e32 v92, 0x3f6eb680, v138
	v_fma_f32 v105, 0xbf7ba420, v132, -v217
	v_fmac_f32_e32 v227, 0x3eb8f4ab, v131
	v_add_f32_e32 v93, v220, v93
	s_delay_alu instid0(VALU_DEP_4) | instskip(NEXT) | instid1(VALU_DEP_4)
	v_add_f32_e32 v144, v92, v162
	v_add_f32_e32 v104, v105, v104
	v_fma_f32 v105, 0x3dbcf732, v134, -v219
	s_delay_alu instid0(VALU_DEP_3) | instskip(NEXT) | instid1(VALU_DEP_2)
	v_dual_add_f32 v92, v141, v91 :: v_dual_add_f32 v91, v144, v140
	v_add_f32_e32 v104, v105, v104
	v_fma_f32 v105, 0x3f6eb680, v136, -v221
	s_delay_alu instid0(VALU_DEP_1) | instskip(NEXT) | instid1(VALU_DEP_1)
	v_dual_add_f32 v104, v105, v104 :: v_dual_add_f32 v105, v224, v191
	v_add_f32_e32 v105, v106, v105
	v_fma_f32 v106, 0xbf7ba420, v96, -v225
	v_fma_f32 v96, 0xbf1a4643, v96, -v142
	s_delay_alu instid0(VALU_DEP_2) | instskip(SKIP_1) | instid1(VALU_DEP_3)
	v_dual_add_f32 v105, v227, v105 :: v_dual_add_f32 v78, v106, v78
	v_fma_f32 v106, 0xbe8c1d8e, v128, -v226
	v_dual_fmac_f32 v107, 0x3e3c28d5, v129 :: v_dual_add_f32 v76, v96, v76
	s_delay_alu instid0(VALU_DEP_3) | instskip(SKIP_1) | instid1(VALU_DEP_3)
	v_add_f32_e32 v105, v229, v105
	v_fma_f32 v96, 0xbf7ba420, v128, -v146
	v_dual_add_f32 v78, v106, v78 :: v_dual_add_f32 v77, v107, v77
	v_fma_f32 v107, 0xbf59a7d5, v138, -v166
	s_delay_alu instid0(VALU_DEP_4)
	v_add_f32_e32 v97, v231, v105
	v_fma_f32 v105, 0x3f6eb680, v130, -v228
	v_add_f32_e32 v76, v96, v76
	v_add_f32_e32 v77, v148, v77
	v_fma_f32 v96, 0xbe8c1d8e, v130, -v150
	v_add_f32_e32 v97, v233, v97
	;; [unrolled: 3-line block ×3, first 2 shown]
	v_add_f32_e32 v76, v96, v76
	v_fma_f32 v96, 0x3f3d2fb0, v132, -v155
	s_delay_alu instid0(VALU_DEP_4) | instskip(SKIP_2) | instid1(VALU_DEP_4)
	v_dual_add_f32 v97, v235, v97 :: v_dual_add_f32 v78, v105, v78
	v_fma_f32 v105, 0xbf59a7d5, v134, -v232
	v_add_f32_e32 v77, v156, v77
	v_add_f32_e32 v76, v96, v76
	v_fma_f32 v96, 0x3f6eb680, v134, -v159
	s_delay_alu instid0(VALU_DEP_4) | instskip(SKIP_1) | instid1(VALU_DEP_3)
	v_dual_fmac_f32 v165, 0xbf06c442, v139 :: v_dual_add_f32 v78, v105, v78
	v_fma_f32 v105, 0xbf1a4643, v136, -v234
	v_add_f32_e32 v76, v96, v76
	v_fma_f32 v96, 0x3dbcf732, v136, -v164
	s_delay_alu instid0(VALU_DEP_3) | instskip(SKIP_1) | instid1(VALU_DEP_3)
	v_dual_add_f32 v78, v105, v78 :: v_dual_add_f32 v105, v160, v77
	v_mul_lo_u16 v77, v118, 17
	v_add_f32_e32 v106, v96, v76
	v_fma_f32 v76, 0xbf1a4643, v138, -v223
	v_fma_f32 v96, 0x3f3d2fb0, v138, -v236
	v_add_f32_e32 v105, v165, v105
	s_delay_alu instid0(VALU_DEP_3) | instskip(NEXT) | instid1(VALU_DEP_3)
	v_dual_add_f32 v76, v76, v104 :: v_dual_and_b32 v77, 0xffff, v77
	v_add_f32_e32 v96, v96, v78
	s_delay_alu instid0(VALU_DEP_2)
	v_dual_add_f32 v104, v107, v106 :: v_dual_lshlrev_b32 v115, 3, v77
	v_add_f32_e32 v77, v222, v93
	ds_store_2addr_b64 v115, v[72:73], v[74:75] offset1:1
	ds_store_2addr_b64 v115, v[91:92], v[89:90] offset0:2 offset1:3
	ds_store_2addr_b64 v115, v[87:88], v[85:86] offset0:4 offset1:5
	;; [unrolled: 1-line block ×7, first 2 shown]
	ds_store_b64 v115, v[68:69] offset:128
.LBB0_17:
	s_wait_alu 0xfffe
	s_or_b32 exec_lo, exec_lo, s1
	v_add_nc_u32_e32 v72, 0x800, v119
	v_add_nc_u32_e32 v104, 0x1c00, v119
	;; [unrolled: 1-line block ×3, first 2 shown]
	global_wb scope:SCOPE_SE
	s_wait_dscnt 0x0
	s_barrier_signal -1
	s_barrier_wait -1
	global_inv scope:SCOPE_SE
	ds_load_2addr_b64 v[72:75], v72 offset0:152 offset1:254
	ds_load_2addr_b64 v[76:79], v104 offset0:124 offset1:226
	;; [unrolled: 1-line block ×3, first 2 shown]
	v_add_nc_u32_e32 v105, 0x400, v119
	v_add_nc_u32_e32 v106, 0x2400, v119
	s_wait_dscnt 0x1
	v_dual_mul_f32 v115, v27, v77 :: v_dual_add_nc_u32 v100, 0x1800, v119
	s_wait_dscnt 0x0
	v_mul_f32_e32 v116, v21, v81
	v_mul_f32_e32 v107, v25, v75
	;; [unrolled: 1-line block ×5, first 2 shown]
	v_fmac_f32_e32 v116, v20, v80
	v_dual_mul_f32 v128, v23, v79 :: v_dual_fmac_f32 v107, v24, v74
	v_mul_f32_e32 v23, v23, v78
	ds_load_2addr_b64 v[84:87], v119 offset1:102
	ds_load_b64 v[92:93], v119 offset:11424
	ds_load_2addr_b64 v[88:91], v105 offset0:76 offset1:178
	ds_load_2addr_b64 v[96:99], v106 offset0:72 offset1:174
	;; [unrolled: 1-line block ×3, first 2 shown]
	v_fma_f32 v24, v24, v75, -v25
	v_fma_f32 v25, v26, v77, -v27
	v_fmac_f32_e32 v128, v22, v78
	v_dual_fmac_f32 v115, v26, v76 :: v_dual_mul_f32 v26, v17, v83
	v_mul_f32_e32 v17, v17, v82
	v_fma_f32 v20, v20, v81, -v21
	v_fma_f32 v21, v22, v79, -v23
	global_wb scope:SCOPE_SE
	s_wait_dscnt 0x0
	v_fmac_f32_e32 v26, v16, v82
	s_barrier_signal -1
	s_barrier_wait -1
	global_inv scope:SCOPE_SE
	v_mul_f32_e32 v80, v11, v93
	v_mul_f32_e32 v11, v11, v92
	;; [unrolled: 1-line block ×3, first 2 shown]
	v_dual_mul_f32 v19, v19, v96 :: v_dual_mul_f32 v78, v9, v103
	v_dual_mul_f32 v76, v15, v99 :: v_dual_mul_f32 v75, v13, v101
	s_delay_alu instid0(VALU_DEP_3)
	v_fmac_f32_e32 v27, v18, v96
	v_mul_f32_e32 v13, v13, v100
	v_mul_f32_e32 v9, v9, v102
	v_fmac_f32_e32 v78, v8, v102
	v_dual_mul_f32 v15, v15, v98 :: v_dual_fmac_f32 v80, v10, v92
	v_fma_f32 v11, v10, v93, -v11
	v_add_f32_e32 v10, v24, v25
	v_fma_f32 v8, v8, v103, -v9
	v_add_f32_e32 v9, v107, v115
	;; [unrolled: 2-line block ×3, first 2 shown]
	v_fma_f32 v77, v12, v101, -v13
	v_dual_fmac_f32 v76, v14, v98 :: v_dual_add_f32 v13, v84, v107
	v_fmac_f32_e32 v75, v12, v100
	v_fma_f32 v12, -0.5, v9, v84
	v_sub_f32_e32 v9, v24, v25
	v_fma_f32 v23, v16, v83, -v17
	v_fma_f32 v79, v14, v99, -v15
	v_add_f32_e32 v81, v73, v8
	v_add_f32_e32 v18, v18, v128
	v_fmamk_f32 v16, v9, 0xbf5db3d7, v12
	v_add_f32_e32 v14, v13, v115
	v_fma_f32 v13, -0.5, v10, v85
	v_dual_sub_f32 v10, v107, v115 :: v_dual_add_f32 v15, v85, v24
	v_dual_fmac_f32 v12, 0x3f5db3d7, v9 :: v_dual_add_f32 v9, v116, v128
	s_delay_alu instid0(VALU_DEP_2) | instskip(SKIP_1) | instid1(VALU_DEP_3)
	v_dual_add_f32 v24, v88, v26 :: v_dual_fmamk_f32 v17, v10, 0x3f5db3d7, v13
	v_dual_fmac_f32 v13, 0xbf5db3d7, v10 :: v_dual_add_f32 v10, v20, v21
	v_fma_f32 v86, -0.5, v9, v86
	v_sub_f32_e32 v9, v20, v21
	v_add_f32_e32 v19, v87, v20
	v_add_f32_e32 v15, v15, v25
	v_dual_fmac_f32 v87, -0.5, v10 :: v_dual_sub_f32 v10, v116, v128
	s_delay_alu instid0(VALU_DEP_4) | instskip(SKIP_2) | instid1(VALU_DEP_4)
	v_fmamk_f32 v20, v9, 0xbf5db3d7, v86
	v_dual_fmac_f32 v86, 0x3f5db3d7, v9 :: v_dual_add_f32 v9, v26, v27
	v_add_f32_e32 v19, v19, v21
	v_dual_fmamk_f32 v21, v10, 0x3f5db3d7, v87 :: v_dual_add_f32 v24, v24, v27
	s_delay_alu instid0(VALU_DEP_3) | instskip(SKIP_3) | instid1(VALU_DEP_1)
	v_fma_f32 v22, -0.5, v9, v88
	v_sub_f32_e32 v9, v23, v74
	v_fmac_f32_e32 v87, 0xbf5db3d7, v10
	v_dual_add_f32 v10, v23, v74 :: v_dual_add_f32 v25, v89, v23
	v_fma_f32 v23, -0.5, v10, v89
	s_delay_alu instid0(VALU_DEP_2) | instskip(SKIP_3) | instid1(VALU_DEP_4)
	v_dual_sub_f32 v10, v26, v27 :: v_dual_add_f32 v25, v25, v74
	v_add_f32_e32 v74, v90, v75
	v_fmamk_f32 v26, v9, 0xbf5db3d7, v22
	v_dual_fmac_f32 v22, 0x3f5db3d7, v9 :: v_dual_add_f32 v9, v75, v76
	v_fmamk_f32 v27, v10, 0x3f5db3d7, v23
	v_dual_fmac_f32 v23, 0xbf5db3d7, v10 :: v_dual_add_f32 v10, v77, v79
	v_add_f32_e32 v74, v74, v76
	s_delay_alu instid0(VALU_DEP_4) | instskip(SKIP_3) | instid1(VALU_DEP_3)
	v_fma_f32 v90, -0.5, v9, v90
	v_sub_f32_e32 v9, v77, v79
	v_add_f32_e32 v77, v91, v77
	v_dual_fmac_f32 v91, -0.5, v10 :: v_dual_sub_f32 v10, v75, v76
	v_fmamk_f32 v76, v9, 0xbf5db3d7, v90
	v_dual_fmac_f32 v90, 0x3f5db3d7, v9 :: v_dual_add_f32 v9, v78, v80
	s_delay_alu instid0(VALU_DEP_4) | instskip(NEXT) | instid1(VALU_DEP_4)
	v_add_f32_e32 v75, v77, v79
	v_fmamk_f32 v77, v10, 0x3f5db3d7, v91
	v_dual_add_f32 v79, v72, v78 :: v_dual_sub_f32 v78, v78, v80
	s_delay_alu instid0(VALU_DEP_4) | instskip(SKIP_2) | instid1(VALU_DEP_1)
	v_fma_f32 v72, -0.5, v9, v72
	v_sub_f32_e32 v9, v8, v11
	v_dual_fmac_f32 v91, 0xbf5db3d7, v10 :: v_dual_add_f32 v10, v8, v11
	v_dual_add_f32 v8, v79, v80 :: v_dual_fmac_f32 v73, -0.5, v10
	s_delay_alu instid0(VALU_DEP_3) | instskip(SKIP_1) | instid1(VALU_DEP_3)
	v_fmamk_f32 v10, v9, 0xbf5db3d7, v72
	v_dual_fmac_f32 v72, 0x3f5db3d7, v9 :: v_dual_add_f32 v9, v81, v11
	v_fmamk_f32 v11, v78, 0x3f5db3d7, v73
	v_fmac_f32_e32 v73, 0xbf5db3d7, v78
	ds_store_2addr_b64 v124, v[14:15], v[16:17] offset1:17
	ds_store_b64 v124, v[12:13] offset:272
	ds_store_2addr_b64 v123, v[18:19], v[20:21] offset1:17
	ds_store_b64 v123, v[86:87] offset:272
	;; [unrolled: 2-line block ×5, first 2 shown]
	v_add_nc_u32_e32 v16, 0xc00, v119
	v_add_nc_u32_e32 v17, 0x1400, v119
	global_wb scope:SCOPE_SE
	s_wait_dscnt 0x0
	s_barrier_signal -1
	s_barrier_wait -1
	global_inv scope:SCOPE_SE
	ds_load_2addr_b64 v[12:15], v119 offset1:102
	ds_load_2addr_b64 v[80:83], v105 offset0:127 offset1:229
	ds_load_2addr_b64 v[76:79], v16 offset0:126 offset1:228
	;; [unrolled: 1-line block ×5, first 2 shown]
	s_and_saveexec_b32 s1, s0
	s_cbranch_execz .LBB0_19
; %bb.18:
	v_add_nc_u32_e32 v8, 0x1650, v119
	v_add_nc_u32_e32 v68, 0x2640, v119
	ds_load_2addr_b64 v[72:75], v8 offset1:255
	s_wait_dscnt 0x0
	v_dual_mov_b32 v94, v74 :: v_dual_add_nc_u32 v9, 0x660, v119
	ds_load_2addr_b64 v[8:11], v9 offset1:255
	ds_load_2addr_b64 v[68:71], v68 offset1:255
	v_mov_b32_e32 v95, v75
.LBB0_19:
	s_wait_alu 0xfffe
	s_or_b32 exec_lo, exec_lo, s1
	s_wait_dscnt 0x4
	v_mul_f32_e32 v74, v37, v81
	v_mul_f32_e32 v37, v37, v80
	s_wait_dscnt 0x3
	v_mul_f32_e32 v75, v39, v77
	v_mul_f32_e32 v39, v39, v76
	global_wb scope:SCOPE_SE
	s_wait_dscnt 0x0
	v_fmac_f32_e32 v74, v36, v80
	v_fma_f32 v36, v36, v81, -v37
	v_mul_f32_e32 v37, v29, v25
	v_fmac_f32_e32 v75, v38, v76
	v_mul_f32_e32 v29, v29, v24
	v_fma_f32 v38, v38, v77, -v39
	v_mul_f32_e32 v39, v31, v21
	v_fmac_f32_e32 v37, v28, v24
	v_mul_f32_e32 v24, v31, v20
	s_barrier_signal -1
	s_barrier_wait -1
	v_fmac_f32_e32 v39, v30, v20
	v_mul_f32_e32 v20, v114, v16
	v_fma_f32 v21, v30, v21, -v24
	v_mul_f32_e32 v30, v43, v79
	v_fma_f32 v25, v28, v25, -v29
	v_dual_mul_f32 v28, v114, v17 :: v_dual_mul_f32 v29, v41, v83
	v_fma_f32 v17, v113, v17, -v20
	s_delay_alu instid0(VALU_DEP_4) | instskip(SKIP_1) | instid1(VALU_DEP_4)
	v_fmac_f32_e32 v30, v42, v78
	v_mul_f32_e32 v20, v43, v78
	v_dual_fmac_f32 v28, v113, v16 :: v_dual_fmac_f32 v29, v40, v82
	v_dual_mul_f32 v16, v41, v82 :: v_dual_mul_f32 v41, v35, v23
	global_inv scope:SCOPE_SE
	v_fma_f32 v31, v40, v83, -v16
	v_mul_f32_e32 v40, v33, v27
	v_mul_f32_e32 v16, v33, v26
	v_fma_f32 v33, v42, v79, -v20
	v_mul_f32_e32 v20, v35, v22
	v_fmac_f32_e32 v41, v34, v22
	v_fmac_f32_e32 v40, v32, v26
	v_fma_f32 v26, v32, v27, -v16
	v_mul_f32_e32 v27, v112, v19
	v_fma_f32 v32, v34, v23, -v20
	v_add_f32_e32 v20, v75, v39
	s_delay_alu instid0(VALU_DEP_3) | instskip(NEXT) | instid1(VALU_DEP_2)
	v_fmac_f32_e32 v27, v111, v18
	v_fma_f32 v23, -0.5, v20, v12
	v_mul_f32_e32 v16, v112, v18
	v_add_f32_e32 v18, v12, v75
	v_sub_f32_e32 v12, v38, v21
	s_delay_alu instid0(VALU_DEP_1) | instskip(SKIP_4) | instid1(VALU_DEP_2)
	v_fmamk_f32 v22, v12, 0xbf5db3d7, v23
	v_fmac_f32_e32 v23, 0x3f5db3d7, v12
	v_fma_f32 v34, v111, v19, -v16
	v_add_f32_e32 v16, v38, v21
	v_add_f32_e32 v19, v74, v37
	v_fma_f32 v35, -0.5, v16, v13
	v_add_f32_e32 v20, v18, v39
	v_add_f32_e32 v18, v13, v38
	v_dual_add_f32 v16, v37, v28 :: v_dual_sub_f32 v13, v75, v39
	s_delay_alu instid0(VALU_DEP_2) | instskip(NEXT) | instid1(VALU_DEP_2)
	v_dual_add_f32 v24, v19, v28 :: v_dual_add_f32 v21, v18, v21
	v_fmac_f32_e32 v74, -0.5, v16
	v_sub_f32_e32 v16, v25, v17
	s_delay_alu instid0(VALU_DEP_1) | instskip(SKIP_2) | instid1(VALU_DEP_3)
	v_dual_fmamk_f32 v19, v16, 0xbf5db3d7, v74 :: v_dual_add_f32 v12, v25, v17
	v_add_f32_e32 v18, v36, v25
	v_fmamk_f32 v38, v13, 0x3f5db3d7, v35
	v_dual_fmac_f32 v35, 0xbf5db3d7, v13 :: v_dual_fmac_f32 v36, -0.5, v12
	v_sub_f32_e32 v12, v37, v28
	s_delay_alu instid0(VALU_DEP_1) | instskip(NEXT) | instid1(VALU_DEP_1)
	v_fmamk_f32 v13, v12, 0x3f5db3d7, v36
	v_mul_f32_e32 v39, 0.5, v13
	v_mul_f32_e32 v25, 0xbf5db3d7, v13
	s_delay_alu instid0(VALU_DEP_2) | instskip(SKIP_1) | instid1(VALU_DEP_3)
	v_fmac_f32_e32 v39, 0x3f5db3d7, v19
	v_add_f32_e32 v37, v18, v17
	v_fmac_f32_e32 v25, 0.5, v19
	s_delay_alu instid0(VALU_DEP_3) | instskip(NEXT) | instid1(VALU_DEP_3)
	v_dual_add_f32 v17, v38, v39 :: v_dual_fmac_f32 v36, 0xbf5db3d7, v12
	v_add_f32_e32 v13, v21, v37
	v_dual_sub_f32 v21, v21, v37 :: v_dual_fmac_f32 v74, 0x3f5db3d7, v16
	s_delay_alu instid0(VALU_DEP_3)
	v_dual_add_f32 v37, v14, v30 :: v_dual_mul_f32 v28, 0xbf5db3d7, v36
	v_mul_f32_e32 v36, -0.5, v36
	v_add_f32_e32 v12, v20, v24
	v_add_f32_e32 v16, v22, v25
	v_sub_f32_e32 v20, v20, v24
	v_sub_f32_e32 v22, v22, v25
	v_fmac_f32_e32 v36, 0x3f5db3d7, v74
	s_delay_alu instid0(VALU_DEP_1) | instskip(NEXT) | instid1(VALU_DEP_1)
	v_dual_fmac_f32 v28, -0.5, v74 :: v_dual_sub_f32 v25, v35, v36
	v_add_f32_e32 v18, v23, v28
	v_sub_f32_e32 v24, v23, v28
	v_dual_add_f32 v28, v30, v41 :: v_dual_add_f32 v19, v35, v36
	v_sub_f32_e32 v23, v38, v39
	v_add_f32_e32 v39, v29, v40
	v_add_f32_e32 v35, v33, v32
	s_delay_alu instid0(VALU_DEP_4) | instskip(SKIP_1) | instid1(VALU_DEP_3)
	v_fma_f32 v14, -0.5, v28, v14
	v_dual_sub_f32 v28, v33, v32 :: v_dual_add_f32 v33, v15, v33
	v_dual_add_f32 v38, v31, v26 :: v_dual_fmac_f32 v15, -0.5, v35
	s_delay_alu instid0(VALU_DEP_2) | instskip(SKIP_4) | instid1(VALU_DEP_3)
	v_fmamk_f32 v35, v28, 0xbf5db3d7, v14
	v_fmac_f32_e32 v14, 0x3f5db3d7, v28
	v_add_f32_e32 v28, v26, v34
	v_add_f32_e32 v36, v37, v41
	;; [unrolled: 1-line block ×3, first 2 shown]
	v_dual_fmac_f32 v31, -0.5, v28 :: v_dual_sub_f32 v28, v40, v27
	v_add_f32_e32 v32, v40, v27
	s_delay_alu instid0(VALU_DEP_1) | instskip(NEXT) | instid1(VALU_DEP_1)
	v_dual_sub_f32 v30, v30, v41 :: v_dual_fmac_f32 v29, -0.5, v32
	v_fmamk_f32 v37, v30, 0x3f5db3d7, v15
	v_sub_f32_e32 v26, v26, v34
	v_fmac_f32_e32 v15, 0xbf5db3d7, v30
	v_fmamk_f32 v30, v28, 0x3f5db3d7, v31
	s_delay_alu instid0(VALU_DEP_3) | instskip(SKIP_1) | instid1(VALU_DEP_3)
	v_dual_add_f32 v32, v39, v27 :: v_dual_fmamk_f32 v27, v26, 0xbf5db3d7, v29
	v_fmac_f32_e32 v29, 0x3f5db3d7, v26
	v_mul_f32_e32 v41, 0.5, v30
	v_mul_f32_e32 v39, 0xbf5db3d7, v30
	s_delay_alu instid0(VALU_DEP_2) | instskip(NEXT) | instid1(VALU_DEP_2)
	v_dual_fmac_f32 v41, 0x3f5db3d7, v27 :: v_dual_add_f32 v38, v38, v34
	v_fmac_f32_e32 v39, 0.5, v27
	s_delay_alu instid0(VALU_DEP_2) | instskip(SKIP_1) | instid1(VALU_DEP_3)
	v_add_f32_e32 v27, v33, v38
	v_sub_f32_e32 v33, v33, v38
	v_dual_fmac_f32 v31, 0xbf5db3d7, v28 :: v_dual_add_f32 v28, v35, v39
	v_dual_sub_f32 v34, v35, v39 :: v_dual_sub_f32 v35, v37, v41
	v_add_f32_e32 v26, v36, v32
	s_delay_alu instid0(VALU_DEP_3) | instskip(SKIP_2) | instid1(VALU_DEP_2)
	v_mul_f32_e32 v40, 0xbf5db3d7, v31
	v_mul_f32_e32 v42, -0.5, v31
	v_sub_f32_e32 v32, v36, v32
	v_fmac_f32_e32 v42, 0x3f5db3d7, v29
	s_delay_alu instid0(VALU_DEP_4) | instskip(SKIP_1) | instid1(VALU_DEP_3)
	v_fmac_f32_e32 v40, -0.5, v29
	v_add_f32_e32 v29, v37, v41
	v_add_f32_e32 v31, v15, v42
	s_delay_alu instid0(VALU_DEP_3)
	v_dual_sub_f32 v15, v15, v42 :: v_dual_add_f32 v30, v14, v40
	v_sub_f32_e32 v14, v14, v40
	ds_store_2addr_b64 v126, v[12:13], v[16:17] offset1:51
	ds_store_2addr_b64 v126, v[18:19], v[20:21] offset0:102 offset1:153
	ds_store_2addr_b64 v126, v[22:23], v[24:25] offset0:204 offset1:255
	ds_store_2addr_b64 v127, v[26:27], v[28:29] offset1:51
	ds_store_2addr_b64 v127, v[30:31], v[32:33] offset0:102 offset1:153
	ds_store_2addr_b64 v127, v[34:35], v[14:15] offset0:204 offset1:255
	s_and_saveexec_b32 s1, s0
	s_cbranch_execz .LBB0_21
; %bb.20:
	v_mul_f32_e32 v12, v7, v72
	v_dual_mul_f32 v13, v3, v68 :: v_dual_mul_f32 v14, v1, v95
	v_dual_mul_f32 v1, v1, v94 :: v_dual_mul_f32 v16, v110, v71
	v_mul_f32_e32 v17, v5, v10
	s_delay_alu instid0(VALU_DEP_4) | instskip(NEXT) | instid1(VALU_DEP_4)
	v_fma_f32 v12, v6, v73, -v12
	v_fma_f32 v13, v2, v69, -v13
	s_delay_alu instid0(VALU_DEP_4) | instskip(SKIP_1) | instid1(VALU_DEP_3)
	v_fma_f32 v18, v0, v95, -v1
	v_dual_mul_f32 v5, v5, v11 :: v_dual_fmac_f32 v14, v0, v94
	v_dual_fmac_f32 v16, v109, v70 :: v_dual_add_f32 v1, v12, v13
	v_fma_f32 v0, v4, v11, -v17
	v_mul_f32_e32 v7, v7, v73
	s_delay_alu instid0(VALU_DEP_3) | instskip(SKIP_2) | instid1(VALU_DEP_4)
	v_dual_fmac_f32 v5, v4, v10 :: v_dual_sub_f32 v10, v14, v16
	v_mul_f32_e32 v17, v3, v69
	v_add_f32_e32 v3, v14, v16
	v_fmac_f32_e32 v7, v6, v72
	s_delay_alu instid0(VALU_DEP_3) | instskip(NEXT) | instid1(VALU_DEP_3)
	v_fmac_f32_e32 v17, v2, v68
	v_fma_f32 v2, -0.5, v3, v5
	v_mul_f32_e32 v15, v110, v70
	s_delay_alu instid0(VALU_DEP_1) | instskip(NEXT) | instid1(VALU_DEP_1)
	v_fma_f32 v15, v109, v71, -v15
	v_add_f32_e32 v11, v18, v15
	s_delay_alu instid0(VALU_DEP_1) | instskip(SKIP_2) | instid1(VALU_DEP_3)
	v_fma_f32 v4, -0.5, v11, v0
	v_fma_f32 v11, -0.5, v1, v9
	v_add_f32_e32 v0, v0, v18
	v_fmamk_f32 v6, v10, 0xbf5db3d7, v4
	v_dual_fmac_f32 v4, 0x3f5db3d7, v10 :: v_dual_sub_f32 v3, v18, v15
	s_delay_alu instid0(VALU_DEP_1) | instskip(NEXT) | instid1(VALU_DEP_2)
	v_mul_f32_e32 v20, 0.5, v4
	v_dual_fmamk_f32 v10, v3, 0x3f5db3d7, v2 :: v_dual_add_f32 v9, v9, v12
	v_fmac_f32_e32 v2, 0xbf5db3d7, v3
	s_delay_alu instid0(VALU_DEP_2) | instskip(SKIP_4) | instid1(VALU_DEP_4)
	v_add_f32_e32 v18, v9, v13
	v_sub_f32_e32 v1, v7, v17
	v_dual_mul_f32 v19, -0.5, v6 :: v_dual_add_f32 v22, v7, v17
	v_mul_f32_e32 v6, 0xbf5db3d7, v6
	v_fmac_f32_e32 v20, 0x3f5db3d7, v2
	v_fmamk_f32 v21, v1, 0xbf5db3d7, v11
	s_delay_alu instid0(VALU_DEP_4)
	v_fmac_f32_e32 v19, 0x3f5db3d7, v10
	v_fma_f32 v22, -0.5, v22, v8
	v_add_f32_e32 v5, v5, v14
	v_sub_f32_e32 v9, v12, v13
	v_add_f32_e32 v12, v0, v15
	v_add_f32_e32 v0, v8, v7
	v_fmac_f32_e32 v6, -0.5, v10
	v_dual_add_f32 v14, v5, v16 :: v_dual_fmac_f32 v11, 0x3f5db3d7, v1
	v_fmamk_f32 v8, v9, 0x3f5db3d7, v22
	s_delay_alu instid0(VALU_DEP_4) | instskip(SKIP_2) | instid1(VALU_DEP_4)
	v_dual_sub_f32 v1, v21, v19 :: v_dual_add_f32 v10, v0, v17
	v_mul_f32_e32 v13, 0xbf5db3d7, v4
	v_dual_sub_f32 v5, v18, v12 :: v_dual_fmac_f32 v22, 0xbf5db3d7, v9
	v_dual_sub_f32 v3, v11, v20 :: v_dual_sub_f32 v0, v8, v6
	s_delay_alu instid0(VALU_DEP_4) | instskip(NEXT) | instid1(VALU_DEP_4)
	v_sub_f32_e32 v4, v10, v14
	v_dual_fmac_f32 v13, 0.5, v2 :: v_dual_lshlrev_b32 v2, 3, v125
	v_dual_add_f32 v7, v21, v19 :: v_dual_add_f32 v6, v8, v6
	s_delay_alu instid0(VALU_DEP_2) | instskip(NEXT) | instid1(VALU_DEP_3)
	v_dual_add_f32 v9, v11, v20 :: v_dual_add_f32 v8, v22, v13
	v_dual_add_f32 v11, v18, v12 :: v_dual_add_nc_u32 v12, 0x2000, v2
	v_add_f32_e32 v10, v10, v14
	v_add_nc_u32_e32 v14, 0x2800, v2
	v_sub_f32_e32 v2, v22, v13
	ds_store_2addr_b64 v12, v[10:11], v[8:9] offset0:200 offset1:251
	ds_store_2addr_b64 v14, v[6:7], v[4:5] offset0:46 offset1:97
	;; [unrolled: 1-line block ×3, first 2 shown]
.LBB0_21:
	s_wait_alu 0xfffe
	s_or_b32 exec_lo, exec_lo, s1
	v_add_nc_u32_e32 v30, 0x400, v119
	v_add_nc_u32_e32 v31, 0x1000, v119
	;; [unrolled: 1-line block ×4, first 2 shown]
	global_wb scope:SCOPE_SE
	s_wait_dscnt 0x0
	s_barrier_signal -1
	s_barrier_wait -1
	global_inv scope:SCOPE_SE
	ds_load_2addr_b64 v[0:3], v30 offset0:76 offset1:178
	ds_load_2addr_b64 v[4:7], v31 offset0:100 offset1:202
	;; [unrolled: 1-line block ×4, first 2 shown]
	v_add_nc_u32_e32 v34, 0x800, v119
	s_wait_dscnt 0x1
	v_dual_mul_f32 v38, v51, v5 :: v_dual_mul_f32 v41, v53, v10
	ds_load_2addr_b64 v[16:19], v34 offset0:152 offset1:254
	s_wait_dscnt 0x1
	v_dual_mul_f32 v36, v49, v3 :: v_dual_mul_f32 v43, v55, v12
	v_add_nc_u32_e32 v35, 0x1c00, v119
	v_dual_mul_f32 v37, v49, v2 :: v_dual_mul_f32 v42, v55, v13
	s_delay_alu instid0(VALU_DEP_3)
	v_fmac_f32_e32 v36, v48, v2
	ds_load_2addr_b64 v[20:23], v119 offset1:102
	ds_load_b64 v[28:29], v119 offset:11424
	ds_load_2addr_b64 v[24:27], v35 offset0:124 offset1:226
	v_fmac_f32_e32 v38, v50, v4
	v_fma_f32 v37, v48, v3, -v37
	v_fmac_f32_e32 v42, v54, v12
	v_fma_f32 v12, v54, v13, -v43
	v_mul_f32_e32 v39, v51, v4
	v_fma_f32 v41, v52, v11, -v41
	s_delay_alu instid0(VALU_DEP_2) | instskip(NEXT) | instid1(VALU_DEP_4)
	v_fma_f32 v39, v50, v5, -v39
	v_dual_mul_f32 v50, v59, v15 :: v_dual_sub_f32 v5, v37, v12
	s_wait_dscnt 0x3
	v_mul_f32_e32 v2, v65, v16
	v_mul_f32_e32 v48, v65, v17
	s_delay_alu instid0(VALU_DEP_2)
	v_fma_f32 v43, v64, v17, -v2
	v_mul_f32_e32 v17, v67, v7
	v_mul_f32_e32 v40, v53, v11
	s_wait_dscnt 0x0
	v_dual_mul_f32 v2, v67, v6 :: v_dual_mul_f32 v3, v57, v24
	v_mul_f32_e32 v49, v57, v25
	v_fmac_f32_e32 v17, v66, v6
	v_fmac_f32_e32 v40, v52, v10
	s_delay_alu instid0(VALU_DEP_4) | instskip(NEXT) | instid1(VALU_DEP_4)
	v_fma_f32 v51, v66, v7, -v2
	v_dual_mul_f32 v2, v59, v14 :: v_dual_fmac_f32 v49, v56, v24
	v_fmac_f32_e32 v48, v64, v16
	v_fma_f32 v24, v56, v25, -v3
	v_mul_f32_e32 v3, v61, v18
	v_dual_mul_f32 v25, v61, v19 :: v_dual_mul_f32 v4, v63, v8
	v_mul_f32_e32 v56, v45, v27
	v_sub_f32_e32 v6, v36, v38
	s_delay_alu instid0(VALU_DEP_4)
	v_fma_f32 v54, v60, v19, -v3
	v_mul_f32_e32 v3, v45, v26
	v_dual_fmac_f32 v50, v58, v14 :: v_dual_mul_f32 v45, v47, v29
	v_mul_f32_e32 v52, v63, v9
	v_fma_f32 v55, v62, v9, -v4
	v_dual_add_f32 v4, v20, v36 :: v_dual_add_f32 v13, v21, v37
	v_fma_f32 v27, v44, v27, -v3
	v_fmac_f32_e32 v45, v46, v28
	s_delay_alu instid0(VALU_DEP_3)
	v_dual_fmac_f32 v52, v62, v8 :: v_dual_add_f32 v3, v4, v38
	v_dual_sub_f32 v8, v42, v40 :: v_dual_add_f32 v9, v36, v42
	v_fma_f32 v53, v58, v15, -v2
	v_dual_add_f32 v2, v38, v40 :: v_dual_sub_f32 v7, v39, v41
	v_mul_f32_e32 v10, v47, v28
	v_dual_add_f32 v3, v3, v40 :: v_dual_fmac_f32 v56, v44, v26
	v_add_f32_e32 v11, v6, v8
	v_fma_f32 v6, -0.5, v9, v20
	v_fma_f32 v2, -0.5, v2, v20
	v_fma_f32 v44, v46, v29, -v10
	v_dual_sub_f32 v15, v37, v39 :: v_dual_sub_f32 v16, v12, v41
	s_delay_alu instid0(VALU_DEP_4) | instskip(NEXT) | instid1(VALU_DEP_4)
	v_fmamk_f32 v10, v7, 0x3f737871, v6
	v_fmamk_f32 v4, v5, 0xbf737871, v2
	v_add_f32_e32 v8, v3, v42
	v_dual_fmac_f32 v2, 0x3f737871, v5 :: v_dual_sub_f32 v3, v38, v36
	s_delay_alu instid0(VALU_DEP_4) | instskip(SKIP_3) | instid1(VALU_DEP_4)
	v_dual_sub_f32 v9, v40, v42 :: v_dual_fmac_f32 v10, 0xbf167918, v5
	v_add_f32_e32 v15, v15, v16
	v_add_f32_e32 v14, v39, v41
	v_fmac_f32_e32 v4, 0xbf167918, v7
	v_dual_fmac_f32 v2, 0x3f167918, v7 :: v_dual_add_f32 v9, v3, v9
	v_fmac_f32_e32 v25, v60, v18
	s_delay_alu instid0(VALU_DEP_4) | instskip(SKIP_4) | instid1(VALU_DEP_3)
	v_fma_f32 v3, -0.5, v14, v21
	v_fmac_f32_e32 v6, 0xbf737871, v7
	v_add_f32_e32 v7, v13, v39
	v_dual_sub_f32 v13, v36, v42 :: v_dual_fmac_f32 v4, 0x3e9e377a, v11
	v_dual_fmac_f32 v2, 0x3e9e377a, v11 :: v_dual_add_f32 v19, v22, v48
	v_add_f32_e32 v11, v7, v41
	v_add_f32_e32 v7, v37, v12
	v_sub_f32_e32 v14, v38, v40
	v_fmac_f32_e32 v6, 0x3f167918, v5
	v_fmamk_f32 v5, v13, 0x3f737871, v3
	v_fmac_f32_e32 v3, 0xbf737871, v13
	v_fma_f32 v7, -0.5, v7, v21
	v_sub_f32_e32 v16, v39, v37
	s_delay_alu instid0(VALU_DEP_4)
	v_dual_add_f32 v18, v17, v49 :: v_dual_fmac_f32 v5, 0x3f167918, v14
	v_fmac_f32_e32 v6, 0x3e9e377a, v9
	v_fmac_f32_e32 v3, 0xbf167918, v14
	v_dual_fmac_f32 v10, 0x3e9e377a, v9 :: v_dual_add_f32 v9, v11, v12
	v_fmamk_f32 v11, v14, 0xbf737871, v7
	v_fmac_f32_e32 v5, 0x3e9e377a, v15
	s_delay_alu instid0(VALU_DEP_4)
	v_fmac_f32_e32 v3, 0x3e9e377a, v15
	v_add_f32_e32 v15, v19, v17
	v_sub_f32_e32 v19, v51, v24
	v_dual_fmac_f32 v11, 0x3f167918, v13 :: v_dual_sub_f32 v12, v41, v12
	v_fmac_f32_e32 v7, 0x3f737871, v14
	v_dual_add_f32 v26, v48, v50 :: v_dual_sub_f32 v21, v50, v49
	v_add_f32_e32 v28, v51, v24
	s_delay_alu instid0(VALU_DEP_4) | instskip(SKIP_3) | instid1(VALU_DEP_4)
	v_add_f32_e32 v16, v16, v12
	v_fma_f32 v12, -0.5, v18, v22
	v_fmac_f32_e32 v7, 0xbf167918, v13
	v_sub_f32_e32 v20, v43, v53
	v_dual_sub_f32 v18, v48, v17 :: v_dual_fmac_f32 v11, 0x3e9e377a, v16
	v_fma_f32 v22, -0.5, v26, v22
	s_delay_alu instid0(VALU_DEP_4) | instskip(NEXT) | instid1(VALU_DEP_4)
	v_fmac_f32_e32 v7, 0x3e9e377a, v16
	v_dual_fmamk_f32 v14, v20, 0xbf737871, v12 :: v_dual_add_f32 v13, v15, v49
	v_add_f32_e32 v26, v23, v43
	v_dual_fmac_f32 v12, 0x3f737871, v20 :: v_dual_sub_f32 v29, v43, v51
	s_delay_alu instid0(VALU_DEP_3) | instskip(NEXT) | instid1(VALU_DEP_4)
	v_fmac_f32_e32 v14, 0xbf167918, v19
	v_add_f32_e32 v16, v13, v50
	v_sub_f32_e32 v13, v17, v48
	v_add_f32_e32 v15, v18, v21
	v_dual_sub_f32 v21, v49, v50 :: v_dual_fmamk_f32 v18, v19, 0x3f737871, v22
	v_fmac_f32_e32 v22, 0xbf737871, v19
	v_fmac_f32_e32 v12, 0x3f167918, v19
	s_delay_alu instid0(VALU_DEP_3) | instskip(NEXT) | instid1(VALU_DEP_4)
	v_dual_fmac_f32 v14, 0x3e9e377a, v15 :: v_dual_add_f32 v21, v13, v21
	v_fmac_f32_e32 v18, 0xbf167918, v20
	v_fma_f32 v13, -0.5, v28, v23
	v_fmac_f32_e32 v22, 0x3f167918, v20
	v_add_f32_e32 v20, v43, v53
	v_sub_f32_e32 v28, v17, v49
	v_dual_fmac_f32 v18, 0x3e9e377a, v21 :: v_dual_sub_f32 v37, v55, v27
	v_sub_f32_e32 v39, v25, v45
	s_delay_alu instid0(VALU_DEP_4) | instskip(SKIP_2) | instid1(VALU_DEP_2)
	v_fmac_f32_e32 v23, -0.5, v20
	v_dual_add_f32 v19, v26, v51 :: v_dual_sub_f32 v26, v48, v50
	v_dual_sub_f32 v36, v53, v24 :: v_dual_sub_f32 v41, v55, v54
	v_add_f32_e32 v19, v19, v24
	s_delay_alu instid0(VALU_DEP_1) | instskip(SKIP_3) | instid1(VALU_DEP_1)
	v_add_f32_e32 v17, v19, v53
	v_fmamk_f32 v19, v28, 0xbf737871, v23
	v_fmac_f32_e32 v12, 0x3e9e377a, v15
	v_fmamk_f32 v15, v26, 0x3f737871, v13
	v_fmac_f32_e32 v15, 0x3f167918, v28
	v_dual_fmac_f32 v13, 0xbf737871, v26 :: v_dual_sub_f32 v24, v24, v53
	v_fmac_f32_e32 v19, 0x3f167918, v26
	v_dual_fmac_f32 v22, 0x3e9e377a, v21 :: v_dual_add_f32 v21, v29, v36
	v_dual_sub_f32 v20, v51, v43 :: v_dual_add_f32 v29, v52, v56
	s_delay_alu instid0(VALU_DEP_1) | instskip(SKIP_1) | instid1(VALU_DEP_3)
	v_dual_fmac_f32 v15, 0x3e9e377a, v21 :: v_dual_add_f32 v36, v20, v24
	v_add_f32_e32 v24, v0, v25
	v_fma_f32 v20, -0.5, v29, v0
	v_sub_f32_e32 v29, v54, v44
	v_fmac_f32_e32 v13, 0xbf167918, v28
	v_fmac_f32_e32 v23, 0x3f737871, v28
	s_delay_alu instid0(VALU_DEP_2) | instskip(NEXT) | instid1(VALU_DEP_2)
	v_dual_sub_f32 v28, v45, v56 :: v_dual_fmac_f32 v13, 0x3e9e377a, v21
	v_dual_fmac_f32 v23, 0xbf167918, v26 :: v_dual_sub_f32 v26, v25, v52
	v_dual_add_f32 v21, v24, v52 :: v_dual_fmamk_f32 v24, v29, 0xbf737871, v20
	v_fmac_f32_e32 v20, 0x3f737871, v29
	s_delay_alu instid0(VALU_DEP_3) | instskip(NEXT) | instid1(VALU_DEP_3)
	v_dual_add_f32 v38, v25, v45 :: v_dual_fmac_f32 v23, 0x3e9e377a, v36
	v_add_f32_e32 v21, v21, v56
	v_add_f32_e32 v28, v26, v28
	s_delay_alu instid0(VALU_DEP_4) | instskip(SKIP_3) | instid1(VALU_DEP_4)
	v_fmac_f32_e32 v20, 0x3f167918, v37
	v_fmac_f32_e32 v24, 0xbf167918, v37
	v_fma_f32 v0, -0.5, v38, v0
	v_dual_add_f32 v26, v21, v45 :: v_dual_add_f32 v21, v55, v27
	v_fmac_f32_e32 v20, 0x3e9e377a, v28
	s_delay_alu instid0(VALU_DEP_4) | instskip(NEXT) | instid1(VALU_DEP_4)
	v_fmac_f32_e32 v24, 0x3e9e377a, v28
	v_fmamk_f32 v28, v37, 0x3f737871, v0
	v_fmac_f32_e32 v19, 0x3e9e377a, v36
	v_fma_f32 v21, -0.5, v21, v1
	v_dual_fmac_f32 v0, 0xbf737871, v37 :: v_dual_add_f32 v37, v1, v54
	v_sub_f32_e32 v36, v52, v25
	v_sub_f32_e32 v38, v56, v45
	v_fmac_f32_e32 v28, 0xbf167918, v29
	v_fmamk_f32 v25, v39, 0x3f737871, v21
	v_fmac_f32_e32 v21, 0xbf737871, v39
	v_dual_fmac_f32 v0, 0x3f167918, v29 :: v_dual_add_f32 v29, v37, v55
	v_add_f32_e32 v37, v54, v44
	s_delay_alu instid0(VALU_DEP_1) | instskip(SKIP_3) | instid1(VALU_DEP_1)
	v_fmac_f32_e32 v1, -0.5, v37
	v_dual_sub_f32 v37, v54, v55 :: v_dual_add_f32 v36, v36, v38
	v_sub_f32_e32 v38, v52, v56
	v_sub_f32_e32 v40, v44, v27
	v_add_f32_e32 v37, v37, v40
	s_delay_alu instid0(VALU_DEP_4) | instskip(SKIP_3) | instid1(VALU_DEP_2)
	v_fmac_f32_e32 v28, 0x3e9e377a, v36
	v_fmac_f32_e32 v0, 0x3e9e377a, v36
	v_dual_add_f32 v36, v29, v27 :: v_dual_fmamk_f32 v29, v38, 0xbf737871, v1
	v_sub_f32_e32 v27, v27, v44
	v_fmac_f32_e32 v29, 0x3f167918, v39
	v_fmac_f32_e32 v1, 0x3f737871, v38
	;; [unrolled: 1-line block ×3, first 2 shown]
	s_delay_alu instid0(VALU_DEP_4) | instskip(SKIP_1) | instid1(VALU_DEP_4)
	v_dual_fmac_f32 v21, 0xbf167918, v38 :: v_dual_add_f32 v38, v41, v27
	v_add_f32_e32 v27, v36, v44
	v_fmac_f32_e32 v1, 0xbf167918, v39
	s_delay_alu instid0(VALU_DEP_4) | instskip(NEXT) | instid1(VALU_DEP_4)
	v_fmac_f32_e32 v25, 0x3e9e377a, v37
	v_fmac_f32_e32 v21, 0x3e9e377a, v37
	v_fmac_f32_e32 v29, 0x3e9e377a, v38
	s_delay_alu instid0(VALU_DEP_4)
	v_fmac_f32_e32 v1, 0x3e9e377a, v38
	ds_store_2addr_b64 v119, v[8:9], v[16:17] offset1:102
	ds_store_2addr_b64 v31, v[10:11], v[18:19] offset0:100 offset1:202
	ds_store_2addr_b64 v33, v[2:3], v[12:13] offset0:72 offset1:174
	ds_store_2addr_b64 v30, v[26:27], v[4:5] offset0:76 offset1:178
	ds_store_2addr_b64 v34, v[14:15], v[24:25] offset0:152 offset1:254
	ds_store_2addr_b64 v32, v[28:29], v[6:7] offset0:48 offset1:150
	ds_store_2addr_b64 v35, v[22:23], v[0:1] offset0:124 offset1:226
	ds_store_b64 v119, v[20:21] offset:11424
	global_wb scope:SCOPE_SE
	s_wait_dscnt 0x0
	s_barrier_signal -1
	s_barrier_wait -1
	global_inv scope:SCOPE_SE
	s_and_b32 exec_lo, exec_lo, vcc_lo
	s_cbranch_execz .LBB0_23
; %bb.22:
	global_load_b64 v[0:1], v117, s[8:9]
	ds_load_b64 v[2:3], v119
	v_mad_co_u64_u32 v[6:7], null, s4, v118, 0
	s_mov_b32 s0, 0x156ac015
	s_mov_b32 s1, 0x3f456ac0
	s_mul_u64 s[2:3], s[4:5], 0x2d0
	s_wait_loadcnt_dscnt 0x0
	v_mul_f32_e32 v4, v3, v1
	v_mul_f32_e32 v1, v2, v1
	s_delay_alu instid0(VALU_DEP_2) | instskip(NEXT) | instid1(VALU_DEP_2)
	v_fmac_f32_e32 v4, v2, v0
	v_fma_f32 v2, v0, v3, -v1
	s_delay_alu instid0(VALU_DEP_2) | instskip(NEXT) | instid1(VALU_DEP_2)
	v_cvt_f64_f32_e32 v[0:1], v4
	v_cvt_f64_f32_e32 v[2:3], v2
	v_mad_co_u64_u32 v[4:5], null, s6, v108, 0
	s_wait_alu 0xfffe
	s_delay_alu instid0(VALU_DEP_3) | instskip(NEXT) | instid1(VALU_DEP_3)
	v_mul_f64_e32 v[0:1], s[0:1], v[0:1]
	v_mul_f64_e32 v[2:3], s[0:1], v[2:3]
	s_delay_alu instid0(VALU_DEP_2) | instskip(NEXT) | instid1(VALU_DEP_2)
	v_cvt_f32_f64_e32 v0, v[0:1]
	v_cvt_f32_f64_e32 v1, v[2:3]
	v_dual_mov_b32 v3, v7 :: v_dual_mov_b32 v2, v5
	s_delay_alu instid0(VALU_DEP_1) | instskip(SKIP_1) | instid1(VALU_DEP_2)
	v_mad_co_u64_u32 v[7:8], null, s7, v108, v[2:3]
	v_mad_co_u64_u32 v[2:3], null, s5, v118, v[3:4]
	v_mov_b32_e32 v5, v7
	s_delay_alu instid0(VALU_DEP_2) | instskip(NEXT) | instid1(VALU_DEP_2)
	v_mov_b32_e32 v7, v2
	v_lshlrev_b64_e32 v[2:3], 3, v[4:5]
	s_delay_alu instid0(VALU_DEP_2) | instskip(NEXT) | instid1(VALU_DEP_2)
	v_lshlrev_b64_e32 v[4:5], 3, v[6:7]
	v_add_co_u32 v2, vcc_lo, s12, v2
	s_delay_alu instid0(VALU_DEP_3) | instskip(NEXT) | instid1(VALU_DEP_2)
	v_add_co_ci_u32_e32 v3, vcc_lo, s13, v3, vcc_lo
	v_add_co_u32 v4, vcc_lo, v2, v4
	s_wait_alu 0xfffd
	s_delay_alu instid0(VALU_DEP_2)
	v_add_co_ci_u32_e32 v5, vcc_lo, v3, v5, vcc_lo
	global_store_b64 v[4:5], v[0:1], off
	global_load_b64 v[6:7], v117, s[8:9] offset:720
	ds_load_2addr_b64 v[0:3], v117 offset0:90 offset1:180
	v_add_co_u32 v4, vcc_lo, v4, s2
	s_wait_alu 0xfffd
	v_add_co_ci_u32_e32 v5, vcc_lo, s3, v5, vcc_lo
	s_wait_loadcnt_dscnt 0x0
	v_mul_f32_e32 v8, v1, v7
	v_mul_f32_e32 v7, v0, v7
	s_delay_alu instid0(VALU_DEP_2) | instskip(NEXT) | instid1(VALU_DEP_2)
	v_fmac_f32_e32 v8, v0, v6
	v_fma_f32 v6, v6, v1, -v7
	s_delay_alu instid0(VALU_DEP_2) | instskip(NEXT) | instid1(VALU_DEP_2)
	v_cvt_f64_f32_e32 v[0:1], v8
	v_cvt_f64_f32_e32 v[6:7], v6
	s_delay_alu instid0(VALU_DEP_2) | instskip(NEXT) | instid1(VALU_DEP_2)
	v_mul_f64_e32 v[0:1], s[0:1], v[0:1]
	v_mul_f64_e32 v[6:7], s[0:1], v[6:7]
	s_delay_alu instid0(VALU_DEP_2) | instskip(NEXT) | instid1(VALU_DEP_2)
	v_cvt_f32_f64_e32 v0, v[0:1]
	v_cvt_f32_f64_e32 v1, v[6:7]
	global_store_b64 v[4:5], v[0:1], off
	global_load_b64 v[0:1], v117, s[8:9] offset:1440
	v_add_co_u32 v4, vcc_lo, v4, s2
	s_wait_alu 0xfffd
	v_add_co_ci_u32_e32 v5, vcc_lo, s3, v5, vcc_lo
	s_wait_loadcnt 0x0
	v_mul_f32_e32 v6, v3, v1
	v_mul_f32_e32 v1, v2, v1
	s_delay_alu instid0(VALU_DEP_2) | instskip(NEXT) | instid1(VALU_DEP_2)
	v_fmac_f32_e32 v6, v2, v0
	v_fma_f32 v2, v0, v3, -v1
	s_delay_alu instid0(VALU_DEP_2) | instskip(NEXT) | instid1(VALU_DEP_2)
	v_cvt_f64_f32_e32 v[0:1], v6
	v_cvt_f64_f32_e32 v[2:3], v2
	s_delay_alu instid0(VALU_DEP_2) | instskip(NEXT) | instid1(VALU_DEP_2)
	v_mul_f64_e32 v[0:1], s[0:1], v[0:1]
	v_mul_f64_e32 v[2:3], s[0:1], v[2:3]
	s_delay_alu instid0(VALU_DEP_2) | instskip(NEXT) | instid1(VALU_DEP_2)
	v_cvt_f32_f64_e32 v0, v[0:1]
	v_cvt_f32_f64_e32 v1, v[2:3]
	global_store_b64 v[4:5], v[0:1], off
	global_load_b64 v[6:7], v117, s[8:9] offset:2160
	v_add_nc_u32_e32 v0, 0x800, v117
	v_add_co_u32 v4, vcc_lo, v4, s2
	s_wait_alu 0xfffd
	v_add_co_ci_u32_e32 v5, vcc_lo, s3, v5, vcc_lo
	ds_load_2addr_b64 v[0:3], v0 offset0:14 offset1:104
	s_wait_loadcnt_dscnt 0x0
	v_mul_f32_e32 v8, v1, v7
	v_mul_f32_e32 v7, v0, v7
	s_delay_alu instid0(VALU_DEP_2) | instskip(NEXT) | instid1(VALU_DEP_2)
	v_fmac_f32_e32 v8, v0, v6
	v_fma_f32 v6, v6, v1, -v7
	s_delay_alu instid0(VALU_DEP_2) | instskip(NEXT) | instid1(VALU_DEP_2)
	v_cvt_f64_f32_e32 v[0:1], v8
	v_cvt_f64_f32_e32 v[6:7], v6
	s_delay_alu instid0(VALU_DEP_2) | instskip(NEXT) | instid1(VALU_DEP_2)
	v_mul_f64_e32 v[0:1], s[0:1], v[0:1]
	v_mul_f64_e32 v[6:7], s[0:1], v[6:7]
	s_delay_alu instid0(VALU_DEP_2) | instskip(NEXT) | instid1(VALU_DEP_2)
	v_cvt_f32_f64_e32 v0, v[0:1]
	v_cvt_f32_f64_e32 v1, v[6:7]
	global_store_b64 v[4:5], v[0:1], off
	global_load_b64 v[0:1], v117, s[8:9] offset:2880
	v_add_co_u32 v4, vcc_lo, v4, s2
	s_wait_alu 0xfffd
	v_add_co_ci_u32_e32 v5, vcc_lo, s3, v5, vcc_lo
	s_wait_loadcnt 0x0
	v_mul_f32_e32 v6, v3, v1
	v_mul_f32_e32 v1, v2, v1
	s_delay_alu instid0(VALU_DEP_2) | instskip(NEXT) | instid1(VALU_DEP_2)
	v_fmac_f32_e32 v6, v2, v0
	v_fma_f32 v2, v0, v3, -v1
	s_delay_alu instid0(VALU_DEP_2) | instskip(NEXT) | instid1(VALU_DEP_2)
	v_cvt_f64_f32_e32 v[0:1], v6
	v_cvt_f64_f32_e32 v[2:3], v2
	s_delay_alu instid0(VALU_DEP_2) | instskip(NEXT) | instid1(VALU_DEP_2)
	v_mul_f64_e32 v[0:1], s[0:1], v[0:1]
	v_mul_f64_e32 v[2:3], s[0:1], v[2:3]
	s_delay_alu instid0(VALU_DEP_2) | instskip(NEXT) | instid1(VALU_DEP_2)
	v_cvt_f32_f64_e32 v0, v[0:1]
	v_cvt_f32_f64_e32 v1, v[2:3]
	global_store_b64 v[4:5], v[0:1], off
	global_load_b64 v[6:7], v117, s[8:9] offset:3600
	v_add_nc_u32_e32 v0, 0xc00, v117
	v_add_co_u32 v4, vcc_lo, v4, s2
	s_wait_alu 0xfffd
	v_add_co_ci_u32_e32 v5, vcc_lo, s3, v5, vcc_lo
	ds_load_2addr_b64 v[0:3], v0 offset0:66 offset1:156
	;; [unrolled: 42-line block ×7, first 2 shown]
	s_wait_loadcnt_dscnt 0x0
	v_mul_f32_e32 v8, v1, v7
	v_mul_f32_e32 v7, v0, v7
	s_delay_alu instid0(VALU_DEP_2) | instskip(NEXT) | instid1(VALU_DEP_2)
	v_fmac_f32_e32 v8, v0, v6
	v_fma_f32 v6, v6, v1, -v7
	s_delay_alu instid0(VALU_DEP_2) | instskip(NEXT) | instid1(VALU_DEP_2)
	v_cvt_f64_f32_e32 v[0:1], v8
	v_cvt_f64_f32_e32 v[6:7], v6
	s_delay_alu instid0(VALU_DEP_2) | instskip(NEXT) | instid1(VALU_DEP_2)
	v_mul_f64_e32 v[0:1], s[0:1], v[0:1]
	v_mul_f64_e32 v[6:7], s[0:1], v[6:7]
	s_delay_alu instid0(VALU_DEP_2) | instskip(NEXT) | instid1(VALU_DEP_2)
	v_cvt_f32_f64_e32 v0, v[0:1]
	v_cvt_f32_f64_e32 v1, v[6:7]
	global_store_b64 v[4:5], v[0:1], off
	global_load_b64 v[0:1], v117, s[8:9] offset:11520
	s_wait_loadcnt 0x0
	v_mul_f32_e32 v6, v3, v1
	v_mul_f32_e32 v1, v2, v1
	s_delay_alu instid0(VALU_DEP_2) | instskip(NEXT) | instid1(VALU_DEP_2)
	v_fmac_f32_e32 v6, v2, v0
	v_fma_f32 v2, v0, v3, -v1
	s_delay_alu instid0(VALU_DEP_2) | instskip(NEXT) | instid1(VALU_DEP_2)
	v_cvt_f64_f32_e32 v[0:1], v6
	v_cvt_f64_f32_e32 v[2:3], v2
	s_delay_alu instid0(VALU_DEP_2) | instskip(NEXT) | instid1(VALU_DEP_2)
	v_mul_f64_e32 v[0:1], s[0:1], v[0:1]
	v_mul_f64_e32 v[2:3], s[0:1], v[2:3]
	s_delay_alu instid0(VALU_DEP_2) | instskip(NEXT) | instid1(VALU_DEP_2)
	v_cvt_f32_f64_e32 v0, v[0:1]
	v_cvt_f32_f64_e32 v1, v[2:3]
	v_add_co_u32 v2, vcc_lo, v4, s2
	s_wait_alu 0xfffd
	v_add_co_ci_u32_e32 v3, vcc_lo, s3, v5, vcc_lo
	global_store_b64 v[2:3], v[0:1], off
.LBB0_23:
	s_nop 0
	s_sendmsg sendmsg(MSG_DEALLOC_VGPRS)
	s_endpgm
	.section	.rodata,"a",@progbits
	.p2align	6, 0x0
	.amdhsa_kernel bluestein_single_back_len1530_dim1_sp_op_CI_CI
		.amdhsa_group_segment_fixed_size 12240
		.amdhsa_private_segment_fixed_size 0
		.amdhsa_kernarg_size 104
		.amdhsa_user_sgpr_count 2
		.amdhsa_user_sgpr_dispatch_ptr 0
		.amdhsa_user_sgpr_queue_ptr 0
		.amdhsa_user_sgpr_kernarg_segment_ptr 1
		.amdhsa_user_sgpr_dispatch_id 0
		.amdhsa_user_sgpr_private_segment_size 0
		.amdhsa_wavefront_size32 1
		.amdhsa_uses_dynamic_stack 0
		.amdhsa_enable_private_segment 0
		.amdhsa_system_sgpr_workgroup_id_x 1
		.amdhsa_system_sgpr_workgroup_id_y 0
		.amdhsa_system_sgpr_workgroup_id_z 0
		.amdhsa_system_sgpr_workgroup_info 0
		.amdhsa_system_vgpr_workitem_id 0
		.amdhsa_next_free_vgpr 237
		.amdhsa_next_free_sgpr 14
		.amdhsa_reserve_vcc 1
		.amdhsa_float_round_mode_32 0
		.amdhsa_float_round_mode_16_64 0
		.amdhsa_float_denorm_mode_32 3
		.amdhsa_float_denorm_mode_16_64 3
		.amdhsa_fp16_overflow 0
		.amdhsa_workgroup_processor_mode 1
		.amdhsa_memory_ordered 1
		.amdhsa_forward_progress 0
		.amdhsa_round_robin_scheduling 0
		.amdhsa_exception_fp_ieee_invalid_op 0
		.amdhsa_exception_fp_denorm_src 0
		.amdhsa_exception_fp_ieee_div_zero 0
		.amdhsa_exception_fp_ieee_overflow 0
		.amdhsa_exception_fp_ieee_underflow 0
		.amdhsa_exception_fp_ieee_inexact 0
		.amdhsa_exception_int_div_zero 0
	.end_amdhsa_kernel
	.text
.Lfunc_end0:
	.size	bluestein_single_back_len1530_dim1_sp_op_CI_CI, .Lfunc_end0-bluestein_single_back_len1530_dim1_sp_op_CI_CI
                                        ; -- End function
	.section	.AMDGPU.csdata,"",@progbits
; Kernel info:
; codeLenInByte = 24496
; NumSgprs: 16
; NumVgprs: 237
; ScratchSize: 0
; MemoryBound: 0
; FloatMode: 240
; IeeeMode: 1
; LDSByteSize: 12240 bytes/workgroup (compile time only)
; SGPRBlocks: 1
; VGPRBlocks: 29
; NumSGPRsForWavesPerEU: 16
; NumVGPRsForWavesPerEU: 237
; Occupancy: 6
; WaveLimiterHint : 1
; COMPUTE_PGM_RSRC2:SCRATCH_EN: 0
; COMPUTE_PGM_RSRC2:USER_SGPR: 2
; COMPUTE_PGM_RSRC2:TRAP_HANDLER: 0
; COMPUTE_PGM_RSRC2:TGID_X_EN: 1
; COMPUTE_PGM_RSRC2:TGID_Y_EN: 0
; COMPUTE_PGM_RSRC2:TGID_Z_EN: 0
; COMPUTE_PGM_RSRC2:TIDIG_COMP_CNT: 0
	.text
	.p2alignl 7, 3214868480
	.fill 96, 4, 3214868480
	.type	__hip_cuid_55190b179cfcd7cc,@object ; @__hip_cuid_55190b179cfcd7cc
	.section	.bss,"aw",@nobits
	.globl	__hip_cuid_55190b179cfcd7cc
__hip_cuid_55190b179cfcd7cc:
	.byte	0                               ; 0x0
	.size	__hip_cuid_55190b179cfcd7cc, 1

	.ident	"AMD clang version 19.0.0git (https://github.com/RadeonOpenCompute/llvm-project roc-6.4.0 25133 c7fe45cf4b819c5991fe208aaa96edf142730f1d)"
	.section	".note.GNU-stack","",@progbits
	.addrsig
	.addrsig_sym __hip_cuid_55190b179cfcd7cc
	.amdgpu_metadata
---
amdhsa.kernels:
  - .args:
      - .actual_access:  read_only
        .address_space:  global
        .offset:         0
        .size:           8
        .value_kind:     global_buffer
      - .actual_access:  read_only
        .address_space:  global
        .offset:         8
        .size:           8
        .value_kind:     global_buffer
      - .actual_access:  read_only
        .address_space:  global
        .offset:         16
        .size:           8
        .value_kind:     global_buffer
      - .actual_access:  read_only
        .address_space:  global
        .offset:         24
        .size:           8
        .value_kind:     global_buffer
      - .actual_access:  read_only
        .address_space:  global
        .offset:         32
        .size:           8
        .value_kind:     global_buffer
      - .offset:         40
        .size:           8
        .value_kind:     by_value
      - .address_space:  global
        .offset:         48
        .size:           8
        .value_kind:     global_buffer
      - .address_space:  global
        .offset:         56
        .size:           8
        .value_kind:     global_buffer
      - .address_space:  global
        .offset:         64
        .size:           8
        .value_kind:     global_buffer
      - .address_space:  global
        .offset:         72
        .size:           8
        .value_kind:     global_buffer
      - .offset:         80
        .size:           4
        .value_kind:     by_value
      - .address_space:  global
        .offset:         88
        .size:           8
        .value_kind:     global_buffer
      - .address_space:  global
        .offset:         96
        .size:           8
        .value_kind:     global_buffer
    .group_segment_fixed_size: 12240
    .kernarg_segment_align: 8
    .kernarg_segment_size: 104
    .language:       OpenCL C
    .language_version:
      - 2
      - 0
    .max_flat_workgroup_size: 102
    .name:           bluestein_single_back_len1530_dim1_sp_op_CI_CI
    .private_segment_fixed_size: 0
    .sgpr_count:     16
    .sgpr_spill_count: 0
    .symbol:         bluestein_single_back_len1530_dim1_sp_op_CI_CI.kd
    .uniform_work_group_size: 1
    .uses_dynamic_stack: false
    .vgpr_count:     237
    .vgpr_spill_count: 0
    .wavefront_size: 32
    .workgroup_processor_mode: 1
amdhsa.target:   amdgcn-amd-amdhsa--gfx1201
amdhsa.version:
  - 1
  - 2
...

	.end_amdgpu_metadata
